;; amdgpu-corpus repo=ROCm/rocFFT kind=compiled arch=gfx906 opt=O3
	.text
	.amdgcn_target "amdgcn-amd-amdhsa--gfx906"
	.amdhsa_code_object_version 6
	.protected	fft_rtc_fwd_len924_factors_2_2_3_7_11_wgs_44_tpt_44_halfLds_dp_op_CI_CI_unitstride_sbrr_dirReg ; -- Begin function fft_rtc_fwd_len924_factors_2_2_3_7_11_wgs_44_tpt_44_halfLds_dp_op_CI_CI_unitstride_sbrr_dirReg
	.globl	fft_rtc_fwd_len924_factors_2_2_3_7_11_wgs_44_tpt_44_halfLds_dp_op_CI_CI_unitstride_sbrr_dirReg
	.p2align	8
	.type	fft_rtc_fwd_len924_factors_2_2_3_7_11_wgs_44_tpt_44_halfLds_dp_op_CI_CI_unitstride_sbrr_dirReg,@function
fft_rtc_fwd_len924_factors_2_2_3_7_11_wgs_44_tpt_44_halfLds_dp_op_CI_CI_unitstride_sbrr_dirReg: ; @fft_rtc_fwd_len924_factors_2_2_3_7_11_wgs_44_tpt_44_halfLds_dp_op_CI_CI_unitstride_sbrr_dirReg
; %bb.0:
	s_load_dwordx4 s[12:15], s[4:5], 0x58
	s_load_dwordx4 s[8:11], s[4:5], 0x0
	;; [unrolled: 1-line block ×3, first 2 shown]
	v_mul_u32_u24_e32 v1, 0x5d2, v0
	v_add_u32_sdwa v6, s6, v1 dst_sel:DWORD dst_unused:UNUSED_PAD src0_sel:DWORD src1_sel:WORD_1
	v_mov_b32_e32 v1, 0
	s_waitcnt lgkmcnt(0)
	v_cmp_lt_u64_e64 s[0:1], s[10:11], 2
	v_mov_b32_e32 v4, 0
	v_mov_b32_e32 v7, v1
	s_and_b64 vcc, exec, s[0:1]
	v_mov_b32_e32 v5, 0
	s_cbranch_vccnz .LBB0_8
; %bb.1:
	s_load_dwordx2 s[0:1], s[4:5], 0x10
	s_add_u32 s2, s18, 8
	s_addc_u32 s3, s19, 0
	s_add_u32 s6, s16, 8
	v_mov_b32_e32 v4, 0
	s_addc_u32 s7, s17, 0
	v_mov_b32_e32 v5, 0
	s_waitcnt lgkmcnt(0)
	s_add_u32 s20, s0, 8
	v_mov_b32_e32 v131, v5
	s_addc_u32 s21, s1, 0
	s_mov_b64 s[22:23], 1
	v_mov_b32_e32 v130, v4
.LBB0_2:                                ; =>This Inner Loop Header: Depth=1
	s_load_dwordx2 s[24:25], s[20:21], 0x0
                                        ; implicit-def: $vgpr132_vgpr133
	s_waitcnt lgkmcnt(0)
	v_or_b32_e32 v2, s25, v7
	v_cmp_ne_u64_e32 vcc, 0, v[1:2]
	s_and_saveexec_b64 s[0:1], vcc
	s_xor_b64 s[26:27], exec, s[0:1]
	s_cbranch_execz .LBB0_4
; %bb.3:                                ;   in Loop: Header=BB0_2 Depth=1
	v_cvt_f32_u32_e32 v2, s24
	v_cvt_f32_u32_e32 v3, s25
	s_sub_u32 s0, 0, s24
	s_subb_u32 s1, 0, s25
	v_mac_f32_e32 v2, 0x4f800000, v3
	v_rcp_f32_e32 v2, v2
	v_mul_f32_e32 v2, 0x5f7ffffc, v2
	v_mul_f32_e32 v3, 0x2f800000, v2
	v_trunc_f32_e32 v3, v3
	v_mac_f32_e32 v2, 0xcf800000, v3
	v_cvt_u32_f32_e32 v3, v3
	v_cvt_u32_f32_e32 v2, v2
	v_mul_lo_u32 v8, s0, v3
	v_mul_hi_u32 v9, s0, v2
	v_mul_lo_u32 v11, s1, v2
	v_mul_lo_u32 v10, s0, v2
	v_add_u32_e32 v8, v9, v8
	v_add_u32_e32 v8, v8, v11
	v_mul_hi_u32 v9, v2, v10
	v_mul_lo_u32 v11, v2, v8
	v_mul_hi_u32 v13, v2, v8
	v_mul_hi_u32 v12, v3, v10
	v_mul_lo_u32 v10, v3, v10
	v_mul_hi_u32 v14, v3, v8
	v_add_co_u32_e32 v9, vcc, v9, v11
	v_addc_co_u32_e32 v11, vcc, 0, v13, vcc
	v_mul_lo_u32 v8, v3, v8
	v_add_co_u32_e32 v9, vcc, v9, v10
	v_addc_co_u32_e32 v9, vcc, v11, v12, vcc
	v_addc_co_u32_e32 v10, vcc, 0, v14, vcc
	v_add_co_u32_e32 v8, vcc, v9, v8
	v_addc_co_u32_e32 v9, vcc, 0, v10, vcc
	v_add_co_u32_e32 v2, vcc, v2, v8
	v_addc_co_u32_e32 v3, vcc, v3, v9, vcc
	v_mul_lo_u32 v8, s0, v3
	v_mul_hi_u32 v9, s0, v2
	v_mul_lo_u32 v10, s1, v2
	v_mul_lo_u32 v11, s0, v2
	v_add_u32_e32 v8, v9, v8
	v_add_u32_e32 v8, v8, v10
	v_mul_lo_u32 v12, v2, v8
	v_mul_hi_u32 v13, v2, v11
	v_mul_hi_u32 v14, v2, v8
	v_mul_hi_u32 v10, v3, v11
	v_mul_lo_u32 v11, v3, v11
	v_mul_hi_u32 v9, v3, v8
	v_add_co_u32_e32 v12, vcc, v13, v12
	v_addc_co_u32_e32 v13, vcc, 0, v14, vcc
	v_mul_lo_u32 v8, v3, v8
	v_add_co_u32_e32 v11, vcc, v12, v11
	v_addc_co_u32_e32 v10, vcc, v13, v10, vcc
	v_addc_co_u32_e32 v9, vcc, 0, v9, vcc
	v_add_co_u32_e32 v8, vcc, v10, v8
	v_addc_co_u32_e32 v9, vcc, 0, v9, vcc
	v_add_co_u32_e32 v8, vcc, v2, v8
	v_addc_co_u32_e32 v9, vcc, v3, v9, vcc
	v_mad_u64_u32 v[2:3], s[0:1], v6, v9, 0
	v_mul_hi_u32 v10, v6, v8
	v_add_co_u32_e32 v10, vcc, v10, v2
	v_addc_co_u32_e32 v11, vcc, 0, v3, vcc
	v_mad_u64_u32 v[2:3], s[0:1], v7, v8, 0
	v_mad_u64_u32 v[8:9], s[0:1], v7, v9, 0
	v_add_co_u32_e32 v2, vcc, v10, v2
	v_addc_co_u32_e32 v2, vcc, v11, v3, vcc
	v_addc_co_u32_e32 v3, vcc, 0, v9, vcc
	v_add_co_u32_e32 v8, vcc, v2, v8
	v_addc_co_u32_e32 v9, vcc, 0, v3, vcc
	v_mul_lo_u32 v10, s25, v8
	v_mul_lo_u32 v11, s24, v9
	v_mad_u64_u32 v[2:3], s[0:1], s24, v8, 0
	v_add3_u32 v3, v3, v11, v10
	v_sub_u32_e32 v10, v7, v3
	v_mov_b32_e32 v11, s25
	v_sub_co_u32_e32 v2, vcc, v6, v2
	v_subb_co_u32_e64 v10, s[0:1], v10, v11, vcc
	v_subrev_co_u32_e64 v11, s[0:1], s24, v2
	v_subbrev_co_u32_e64 v10, s[0:1], 0, v10, s[0:1]
	v_cmp_le_u32_e64 s[0:1], s25, v10
	v_cndmask_b32_e64 v12, 0, -1, s[0:1]
	v_cmp_le_u32_e64 s[0:1], s24, v11
	v_cndmask_b32_e64 v11, 0, -1, s[0:1]
	v_cmp_eq_u32_e64 s[0:1], s25, v10
	v_cndmask_b32_e64 v10, v12, v11, s[0:1]
	v_add_co_u32_e64 v11, s[0:1], 2, v8
	v_addc_co_u32_e64 v12, s[0:1], 0, v9, s[0:1]
	v_add_co_u32_e64 v13, s[0:1], 1, v8
	v_addc_co_u32_e64 v14, s[0:1], 0, v9, s[0:1]
	v_subb_co_u32_e32 v3, vcc, v7, v3, vcc
	v_cmp_ne_u32_e64 s[0:1], 0, v10
	v_cmp_le_u32_e32 vcc, s25, v3
	v_cndmask_b32_e64 v10, v14, v12, s[0:1]
	v_cndmask_b32_e64 v12, 0, -1, vcc
	v_cmp_le_u32_e32 vcc, s24, v2
	v_cndmask_b32_e64 v2, 0, -1, vcc
	v_cmp_eq_u32_e32 vcc, s25, v3
	v_cndmask_b32_e32 v2, v12, v2, vcc
	v_cmp_ne_u32_e32 vcc, 0, v2
	v_cndmask_b32_e64 v2, v13, v11, s[0:1]
	v_cndmask_b32_e32 v133, v9, v10, vcc
	v_cndmask_b32_e32 v132, v8, v2, vcc
.LBB0_4:                                ;   in Loop: Header=BB0_2 Depth=1
	s_andn2_saveexec_b64 s[0:1], s[26:27]
	s_cbranch_execz .LBB0_6
; %bb.5:                                ;   in Loop: Header=BB0_2 Depth=1
	v_cvt_f32_u32_e32 v2, s24
	s_sub_i32 s26, 0, s24
	v_mov_b32_e32 v133, v1
	v_rcp_iflag_f32_e32 v2, v2
	v_mul_f32_e32 v2, 0x4f7ffffe, v2
	v_cvt_u32_f32_e32 v2, v2
	v_mul_lo_u32 v3, s26, v2
	v_mul_hi_u32 v3, v2, v3
	v_add_u32_e32 v2, v2, v3
	v_mul_hi_u32 v2, v6, v2
	v_mul_lo_u32 v3, v2, s24
	v_add_u32_e32 v8, 1, v2
	v_sub_u32_e32 v3, v6, v3
	v_subrev_u32_e32 v9, s24, v3
	v_cmp_le_u32_e32 vcc, s24, v3
	v_cndmask_b32_e32 v3, v3, v9, vcc
	v_cndmask_b32_e32 v2, v2, v8, vcc
	v_add_u32_e32 v8, 1, v2
	v_cmp_le_u32_e32 vcc, s24, v3
	v_cndmask_b32_e32 v132, v2, v8, vcc
.LBB0_6:                                ;   in Loop: Header=BB0_2 Depth=1
	s_or_b64 exec, exec, s[0:1]
	v_mul_lo_u32 v8, v133, s24
	v_mul_lo_u32 v9, v132, s25
	v_mad_u64_u32 v[2:3], s[0:1], v132, s24, 0
	s_load_dwordx2 s[0:1], s[6:7], 0x0
	s_load_dwordx2 s[24:25], s[2:3], 0x0
	v_add3_u32 v3, v3, v9, v8
	v_sub_co_u32_e32 v2, vcc, v6, v2
	v_subb_co_u32_e32 v3, vcc, v7, v3, vcc
	s_waitcnt lgkmcnt(0)
	v_mul_lo_u32 v6, s0, v3
	v_mul_lo_u32 v7, s1, v2
	v_mad_u64_u32 v[4:5], s[0:1], s0, v2, v[4:5]
	v_mul_lo_u32 v3, s24, v3
	v_mul_lo_u32 v8, s25, v2
	v_mad_u64_u32 v[130:131], s[0:1], s24, v2, v[130:131]
	s_add_u32 s22, s22, 1
	s_addc_u32 s23, s23, 0
	s_add_u32 s2, s2, 8
	v_add3_u32 v131, v8, v131, v3
	s_addc_u32 s3, s3, 0
	v_mov_b32_e32 v2, s10
	s_add_u32 s6, s6, 8
	v_mov_b32_e32 v3, s11
	s_addc_u32 s7, s7, 0
	v_cmp_ge_u64_e32 vcc, s[22:23], v[2:3]
	s_add_u32 s20, s20, 8
	v_add3_u32 v5, v7, v5, v6
	s_addc_u32 s21, s21, 0
	s_cbranch_vccnz .LBB0_9
; %bb.7:                                ;   in Loop: Header=BB0_2 Depth=1
	v_mov_b32_e32 v6, v132
	v_mov_b32_e32 v7, v133
	s_branch .LBB0_2
.LBB0_8:
	v_mov_b32_e32 v131, v5
	v_mov_b32_e32 v133, v7
	;; [unrolled: 1-line block ×4, first 2 shown]
.LBB0_9:
	s_load_dwordx2 s[2:3], s[4:5], 0x28
	s_lshl_b64 s[6:7], s[10:11], 3
	s_add_u32 s4, s18, s6
	s_addc_u32 s5, s19, s7
                                        ; implicit-def: $vgpr134
	s_waitcnt lgkmcnt(0)
	v_cmp_gt_u64_e64 s[0:1], s[2:3], v[132:133]
	v_cmp_le_u64_e32 vcc, s[2:3], v[132:133]
	s_and_saveexec_b64 s[2:3], vcc
	s_xor_b64 s[2:3], exec, s[2:3]
; %bb.10:
	s_mov_b32 s10, 0x5d1745e
	v_mul_hi_u32 v1, v0, s10
                                        ; implicit-def: $vgpr4_vgpr5
	v_mul_u32_u24_e32 v1, 44, v1
	v_sub_u32_e32 v134, v0, v1
                                        ; implicit-def: $vgpr0
; %bb.11:
	s_or_saveexec_b64 s[2:3], s[2:3]
	s_load_dwordx2 s[4:5], s[4:5], 0x0
                                        ; implicit-def: $vgpr74_vgpr75
                                        ; implicit-def: $vgpr70_vgpr71
                                        ; implicit-def: $vgpr50_vgpr51
                                        ; implicit-def: $vgpr26_vgpr27
                                        ; implicit-def: $vgpr58_vgpr59
                                        ; implicit-def: $vgpr18_vgpr19
                                        ; implicit-def: $vgpr42_vgpr43
                                        ; implicit-def: $vgpr6_vgpr7
                                        ; implicit-def: $vgpr46_vgpr47
                                        ; implicit-def: $vgpr2_vgpr3
                                        ; implicit-def: $vgpr38_vgpr39
                                        ; implicit-def: $vgpr54_vgpr55
                                        ; implicit-def: $vgpr34_vgpr35
                                        ; implicit-def: $vgpr62_vgpr63
                                        ; implicit-def: $vgpr30_vgpr31
                                        ; implicit-def: $vgpr66_vgpr67
                                        ; implicit-def: $vgpr22_vgpr23
                                        ; implicit-def: $vgpr80_vgpr81
                                        ; implicit-def: $vgpr14_vgpr15
                                        ; implicit-def: $vgpr84_vgpr85
                                        ; implicit-def: $vgpr10_vgpr11
                                        ; implicit-def: $vgpr88_vgpr89
	s_xor_b64 exec, exec, s[2:3]
	s_cbranch_execz .LBB0_15
; %bb.12:
	s_add_u32 s6, s16, s6
	s_addc_u32 s7, s17, s7
	s_load_dwordx2 s[6:7], s[6:7], 0x0
	s_mov_b32 s10, 0x5d1745e
	v_mul_hi_u32 v3, v0, s10
	s_waitcnt lgkmcnt(0)
	v_mul_lo_u32 v6, s7, v132
	v_mul_lo_u32 v7, s6, v133
	v_mad_u64_u32 v[1:2], s[6:7], s6, v132, 0
	v_mul_u32_u24_e32 v3, 44, v3
	v_sub_u32_e32 v134, v0, v3
	v_add3_u32 v2, v2, v7, v6
	v_lshlrev_b64 v[0:1], 4, v[1:2]
	v_mov_b32_e32 v2, s13
	v_add_co_u32_e32 v3, vcc, s12, v0
	v_addc_co_u32_e32 v2, vcc, v2, v1, vcc
	v_lshlrev_b64 v[0:1], 4, v[4:5]
	s_movk_i32 s6, 0x1000
	v_add_co_u32_e32 v0, vcc, v3, v0
	v_addc_co_u32_e32 v1, vcc, v2, v1, vcc
	v_lshlrev_b32_e32 v2, 4, v134
	v_add_co_u32_e32 v70, vcc, v0, v2
	v_addc_co_u32_e32 v71, vcc, 0, v1, vcc
	v_add_co_u32_e32 v68, vcc, s6, v70
	v_addc_co_u32_e32 v69, vcc, 0, v71, vcc
	s_movk_i32 s6, 0x2000
	v_add_co_u32_e32 v72, vcc, s6, v70
	v_addc_co_u32_e32 v73, vcc, 0, v71, vcc
	s_movk_i32 s6, 0x3000
	v_add_co_u32_e32 v74, vcc, s6, v70
	global_load_dwordx4 v[8:11], v[68:69], off offset:3296
	global_load_dwordx4 v[12:15], v[68:69], off offset:4000
	global_load_dwordx4 v[20:23], v[72:73], off offset:608
	global_load_dwordx4 v[28:31], v[72:73], off offset:1312
	global_load_dwordx4 v[32:35], v[72:73], off offset:2016
	global_load_dwordx4 v[36:39], v[72:73], off offset:2720
	global_load_dwordx4 v[0:3], v[68:69], off offset:128
	global_load_dwordx4 v[4:7], v[68:69], off offset:832
	v_addc_co_u32_e32 v75, vcc, 0, v71, vcc
	global_load_dwordx4 v[44:47], v[72:73], off offset:3424
	global_load_dwordx4 v[40:43], v[74:75], off offset:32
	;; [unrolled: 1-line block ×6, first 2 shown]
	global_load_dwordx4 v[86:89], v[70:71], off
	global_load_dwordx4 v[82:85], v[70:71], off offset:704
	global_load_dwordx4 v[78:81], v[70:71], off offset:1408
	;; [unrolled: 1-line block ×5, first 2 shown]
	v_cmp_gt_u32_e32 vcc, 22, v134
                                        ; implicit-def: $vgpr68_vgpr69
                                        ; implicit-def: $vgpr72_vgpr73
	s_and_saveexec_b64 s[6:7], vcc
	s_cbranch_execz .LBB0_14
; %bb.13:
	v_add_co_u32_e32 v76, vcc, 0x1000, v70
	v_addc_co_u32_e32 v77, vcc, 0, v71, vcc
	v_add_co_u32_e32 v90, vcc, 0x3000, v70
	v_addc_co_u32_e32 v91, vcc, 0, v71, vcc
	global_load_dwordx4 v[68:71], v[76:77], off offset:2944
	global_load_dwordx4 v[72:75], v[90:91], off offset:2144
.LBB0_14:
	s_or_b64 exec, exec, s[6:7]
.LBB0_15:
	s_or_b64 exec, exec, s[2:3]
	s_waitcnt vmcnt(5)
	v_add_f64 v[92:93], v[86:87], -v[8:9]
	s_waitcnt vmcnt(3)
	v_add_f64 v[100:101], v[78:79], -v[20:21]
	;; [unrolled: 2-line block ×3, first 2 shown]
	v_lshl_add_u32 v8, v134, 4, 0
	v_add_f64 v[96:97], v[82:83], -v[12:13]
	v_add_f64 v[104:105], v[64:65], -v[28:29]
	s_waitcnt vmcnt(0)
	v_add_f64 v[110:111], v[52:53], -v[36:37]
	v_add_f64 v[114:115], v[0:1], -v[44:45]
	v_fma_f64 v[90:91], v[86:87], 2.0, -v[92:93]
	v_add_f64 v[118:119], v[4:5], -v[40:41]
	v_add_f64 v[122:123], v[16:17], -v[56:57]
	v_fma_f64 v[98:99], v[78:79], 2.0, -v[100:101]
	v_fma_f64 v[106:107], v[60:61], 2.0, -v[108:109]
	v_add_f64 v[78:79], v[68:69], -v[72:73]
	v_add_u32_e32 v60, 0xb0, v134
	v_lshl_add_u32 v20, v60, 4, 0
	ds_write_b128 v8, v[90:93]
	v_add_f64 v[92:93], v[24:25], -v[48:49]
	v_fma_f64 v[94:95], v[82:83], 2.0, -v[96:97]
	v_fma_f64 v[102:103], v[64:65], 2.0, -v[104:105]
	ds_write_b128 v20, v[106:109]
	v_fma_f64 v[108:109], v[52:53], 2.0, -v[110:111]
	v_fma_f64 v[112:113], v[0:1], 2.0, -v[114:115]
	;; [unrolled: 1-line block ×6, first 2 shown]
	v_add_u32_e32 v135, 44, v134
	v_add_u32_e32 v56, 0x58, v134
	;; [unrolled: 1-line block ×9, first 2 shown]
	v_lshl_add_u32 v9, v135, 4, 0
	v_lshl_add_u32 v12, v56, 4, 0
	;; [unrolled: 1-line block ×8, first 2 shown]
	v_cmp_gt_u32_e32 vcc, 22, v134
	v_lshl_add_u32 v17, v0, 4, 0
	ds_write_b128 v9, v[94:97]
	ds_write_b128 v12, v[98:101]
	;; [unrolled: 1-line block ×8, first 2 shown]
	s_and_saveexec_b64 s[2:3], vcc
	s_cbranch_execz .LBB0_17
; %bb.16:
	ds_write_b128 v17, v[76:79]
.LBB0_17:
	s_or_b64 exec, exec, s[2:3]
	v_lshl_add_u32 v136, v134, 3, 0
	v_add_u32_e32 v4, 0x800, v136
	v_add_u32_e32 v5, 0x1000, v136
	s_waitcnt lgkmcnt(0)
	; wave barrier
	s_waitcnt lgkmcnt(0)
	ds_read2_b64 v[110:113], v136 offset1:44
	ds_read2_b64 v[106:109], v4 offset0:206 offset1:250
	ds_read2_b64 v[114:117], v136 offset0:88 offset1:132
	;; [unrolled: 1-line block ×6, first 2 shown]
	v_add_u32_e32 v5, 0x1400, v136
	ds_read2_b64 v[94:97], v5 offset0:86 offset1:130
	ds_read2_b64 v[126:129], v4 offset0:96 offset1:140
	v_add_u32_e32 v4, 0x1800, v136
	ds_read2_b64 v[90:93], v4 offset0:46 offset1:90
	s_and_saveexec_b64 s[2:3], vcc
	s_cbranch_execz .LBB0_19
; %bb.18:
	ds_read_b64 v[76:77], v136 offset:3520
	ds_read_b64 v[78:79], v136 offset:7216
.LBB0_19:
	s_or_b64 exec, exec, s[2:3]
	v_add_f64 v[32:33], v[88:89], -v[10:11]
	v_add_f64 v[40:41], v[80:81], -v[22:23]
	;; [unrolled: 1-line block ×9, first 2 shown]
	v_fma_f64 v[30:31], v[88:89], 2.0, -v[32:33]
	v_fma_f64 v[38:39], v[80:81], 2.0, -v[40:41]
	v_add_f64 v[139:140], v[18:19], -v[58:59]
	v_add_f64 v[143:144], v[26:27], -v[50:51]
	v_fma_f64 v[80:81], v[2:3], 2.0, -v[82:83]
	v_fma_f64 v[2:3], v[70:71], 2.0, -v[4:5]
	;; [unrolled: 1-line block ×9, first 2 shown]
	s_waitcnt lgkmcnt(0)
	; wave barrier
	s_waitcnt lgkmcnt(0)
	ds_write_b128 v8, v[30:33]
	ds_write_b128 v9, v[34:37]
	ds_write_b128 v12, v[38:41]
	ds_write_b128 v13, v[42:45]
	ds_write_b128 v20, v[50:53]
	ds_write_b128 v16, v[66:69]
	ds_write_b128 v21, v[80:83]
	ds_write_b128 v24, v[84:87]
	ds_write_b128 v25, v[137:140]
	ds_write_b128 v28, v[141:144]
	s_and_saveexec_b64 s[2:3], vcc
	s_cbranch_execz .LBB0_21
; %bb.20:
	ds_write_b128 v17, v[2:5]
.LBB0_21:
	s_or_b64 exec, exec, s[2:3]
	v_add_u32_e32 v18, 0x800, v136
	v_add_u32_e32 v14, 0x1000, v136
	s_waitcnt lgkmcnt(0)
	; wave barrier
	s_waitcnt lgkmcnt(0)
	ds_read2_b64 v[22:25], v136 offset1:44
	ds_read2_b64 v[42:45], v18 offset0:206 offset1:250
	ds_read2_b64 v[6:9], v136 offset0:88 offset1:132
	;; [unrolled: 1-line block ×6, first 2 shown]
	v_add_u32_e32 v19, 0x1400, v136
	v_add_u32_e32 v34, 0x1800, v136
	ds_read2_b64 v[30:33], v19 offset0:86 offset1:130
	ds_read2_b64 v[18:21], v18 offset0:96 offset1:140
	;; [unrolled: 1-line block ×3, first 2 shown]
	v_lshlrev_b32_e32 v51, 1, v134
	v_lshlrev_b32_e32 v52, 1, v135
	;; [unrolled: 1-line block ×10, first 2 shown]
	s_and_saveexec_b64 s[2:3], vcc
	s_cbranch_execz .LBB0_23
; %bb.22:
	ds_read_b64 v[2:3], v136 offset:3520
	ds_read_b64 v[4:5], v136 offset:7216
.LBB0_23:
	s_or_b64 exec, exec, s[2:3]
	v_and_b32_e32 v50, 1, v134
	v_lshlrev_b32_e32 v46, 4, v50
	global_load_dwordx4 v[46:49], v46, s[8:9]
	s_movk_i32 s3, 0xfc
	s_movk_i32 s7, 0x1fc
	;; [unrolled: 1-line block ×4, first 2 shown]
	v_and_or_b32 v52, v52, s3, v50
	v_and_or_b32 v53, v53, s7, v50
	;; [unrolled: 1-line block ×6, first 2 shown]
	v_lshl_add_u32 v54, v52, 3, 0
	v_lshl_add_u32 v55, v53, 3, 0
	v_and_or_b32 v67, v58, s6, v50
	v_lshl_add_u32 v58, v65, 3, 0
	v_lshl_add_u32 v59, v66, 3, 0
	;; [unrolled: 1-line block ×4, first 2 shown]
	s_movk_i32 s2, 0x7c
	v_and_or_b32 v51, v51, s2, v50
	v_and_or_b32 v63, v63, s10, v50
	;; [unrolled: 1-line block ×3, first 2 shown]
	v_lshl_add_u32 v51, v51, 3, 0
	s_waitcnt lgkmcnt(0)
	; wave barrier
	s_waitcnt lgkmcnt(0)
	v_lshl_add_u32 v62, v67, 3, 0
	v_lshl_add_u32 v63, v63, 3, 0
	;; [unrolled: 1-line block ×3, first 2 shown]
	s_waitcnt vmcnt(0)
	v_mul_f64 v[52:53], v[42:43], v[48:49]
	v_mul_f64 v[68:69], v[44:45], v[48:49]
	;; [unrolled: 1-line block ×10, first 2 shown]
	v_fma_f64 v[52:53], v[106:107], v[46:47], -v[52:53]
	v_mul_f64 v[137:138], v[4:5], v[48:49]
	v_fma_f64 v[68:69], v[108:109], v[46:47], -v[68:69]
	v_fma_f64 v[70:71], v[102:103], v[46:47], -v[70:71]
	;; [unrolled: 1-line block ×9, first 2 shown]
	v_add_f64 v[52:53], v[110:111], -v[52:53]
	v_fma_f64 v[137:138], v[78:79], v[46:47], -v[137:138]
	v_add_f64 v[68:69], v[112:113], -v[68:69]
	v_add_f64 v[70:71], v[114:115], -v[70:71]
	;; [unrolled: 1-line block ×9, first 2 shown]
	v_fma_f64 v[110:111], v[110:111], 2.0, -v[52:53]
	v_add_f64 v[80:81], v[76:77], -v[137:138]
	v_fma_f64 v[112:113], v[112:113], 2.0, -v[68:69]
	v_fma_f64 v[114:115], v[114:115], 2.0, -v[70:71]
	;; [unrolled: 1-line block ×9, first 2 shown]
	ds_write2_b64 v51, v[110:111], v[52:53] offset1:2
	ds_write2_b64 v54, v[112:113], v[68:69] offset1:2
	;; [unrolled: 1-line block ×10, first 2 shown]
	v_lshlrev_b32_e32 v68, 1, v0
	s_and_saveexec_b64 s[2:3], vcc
	s_cbranch_execz .LBB0_25
; %bb.24:
	v_fma_f64 v[0:1], v[76:77], 2.0, -v[80:81]
	v_and_or_b32 v52, v68, s6, v50
	v_lshl_add_u32 v52, v52, 3, 0
	ds_write2_b64 v52, v[0:1], v[80:81] offset1:2
.LBB0_25:
	s_or_b64 exec, exec, s[2:3]
	v_mul_f64 v[0:1], v[106:107], v[48:49]
	v_mul_f64 v[52:53], v[108:109], v[48:49]
	;; [unrolled: 1-line block ×8, first 2 shown]
	v_fma_f64 v[0:1], v[42:43], v[46:47], v[0:1]
	v_fma_f64 v[42:43], v[44:45], v[46:47], v[52:53]
	v_mul_f64 v[44:45], v[90:91], v[48:49]
	v_mul_f64 v[52:53], v[92:93], v[48:49]
	;; [unrolled: 1-line block ×3, first 2 shown]
	v_fma_f64 v[38:39], v[38:39], v[46:47], v[69:70]
	v_fma_f64 v[40:41], v[40:41], v[46:47], v[71:72]
	;; [unrolled: 1-line block ×3, first 2 shown]
	v_add_f64 v[69:70], v[22:23], -v[0:1]
	v_fma_f64 v[0:1], v[28:29], v[46:47], v[75:76]
	v_fma_f64 v[28:29], v[30:31], v[46:47], v[82:83]
	;; [unrolled: 1-line block ×6, first 2 shown]
	v_add_f64 v[73:74], v[6:7], -v[38:39]
	v_add_f64 v[75:76], v[8:9], -v[40:41]
	;; [unrolled: 1-line block ×9, first 2 shown]
	v_add_u32_e32 v53, 0x800, v136
	v_add_u32_e32 v52, 0x1000, v136
	v_fma_f64 v[94:95], v[6:7], 2.0, -v[73:74]
	v_fma_f64 v[96:97], v[8:9], 2.0, -v[75:76]
	;; [unrolled: 1-line block ×7, first 2 shown]
	v_add_f64 v[82:83], v[2:3], -v[4:5]
	s_waitcnt lgkmcnt(0)
	; wave barrier
	s_waitcnt lgkmcnt(0)
	ds_read2_b64 v[16:19], v136 offset1:44
	ds_read2_b64 v[4:7], v53 offset0:8 offset1:52
	ds_read2_b64 v[40:43], v52 offset0:104 offset1:148
	;; [unrolled: 1-line block ×7, first 2 shown]
	v_fma_f64 v[45:46], v[22:23], 2.0, -v[69:70]
	v_fma_f64 v[47:48], v[24:25], 2.0, -v[71:72]
	v_add_u32_e32 v44, 0x1800, v136
	v_fma_f64 v[108:109], v[20:21], 2.0, -v[92:93]
	ds_read2_b64 v[24:27], v44 offset0:24 offset1:68
	ds_read2_b64 v[20:23], v52 offset0:16 offset1:60
	ds_read_b64 v[0:1], v136 offset:7040
	s_waitcnt lgkmcnt(0)
	; wave barrier
	s_waitcnt lgkmcnt(0)
	ds_write2_b64 v51, v[45:46], v[69:70] offset1:2
	ds_write2_b64 v54, v[47:48], v[71:72] offset1:2
	;; [unrolled: 1-line block ×10, first 2 shown]
	s_and_saveexec_b64 s[2:3], vcc
	s_cbranch_execz .LBB0_27
; %bb.26:
	v_fma_f64 v[2:3], v[2:3], 2.0, -v[82:83]
	v_and_or_b32 v45, v68, s6, v50
	v_lshl_add_u32 v45, v45, 3, 0
	ds_write2_b64 v45, v[2:3], v[82:83] offset1:2
.LBB0_27:
	s_or_b64 exec, exec, s[2:3]
	v_and_b32_e32 v79, 3, v134
	v_lshlrev_b32_e32 v2, 5, v79
	s_waitcnt lgkmcnt(0)
	; wave barrier
	s_waitcnt lgkmcnt(0)
	global_load_dwordx4 v[45:48], v2, s[8:9] offset:32
	global_load_dwordx4 v[65:68], v2, s[8:9] offset:48
	ds_read2_b64 v[69:72], v136 offset1:44
	ds_read2_b64 v[73:76], v53 offset0:8 offset1:52
	ds_read2_b64 v[84:87], v52 offset0:104 offset1:148
	;; [unrolled: 1-line block ×9, first 2 shown]
	ds_read_b64 v[2:3], v136 offset:7040
	s_mov_b32 s2, 0xe8584caa
	s_mov_b32 s3, 0x3febb67a
	;; [unrolled: 1-line block ×4, first 2 shown]
	s_waitcnt lgkmcnt(0)
	; wave barrier
	s_waitcnt lgkmcnt(0)
	s_mov_b32 s10, 0x37e14327
	s_mov_b32 s16, 0xe976ee23
	;; [unrolled: 1-line block ×18, first 2 shown]
	s_waitcnt vmcnt(1)
	v_mul_f64 v[49:50], v[75:76], v[47:48]
	v_mul_f64 v[54:55], v[6:7], v[47:48]
	s_waitcnt vmcnt(0)
	v_mul_f64 v[58:59], v[84:85], v[67:68]
	v_mul_f64 v[62:63], v[40:41], v[67:68]
	v_mul_f64 v[77:78], v[88:89], v[47:48]
	v_mul_f64 v[116:117], v[36:37], v[47:48]
	v_mul_f64 v[118:119], v[86:87], v[67:68]
	v_mul_f64 v[120:121], v[42:43], v[67:68]
	v_mul_f64 v[122:123], v[90:91], v[47:48]
	v_mul_f64 v[124:125], v[38:39], v[47:48]
	v_mul_f64 v[126:127], v[96:97], v[67:68]
	v_mul_f64 v[128:129], v[32:33], v[67:68]
	v_mul_f64 v[137:138], v[100:101], v[47:48]
	v_mul_f64 v[139:140], v[28:29], v[47:48]
	v_mul_f64 v[141:142], v[98:99], v[67:68]
	v_mul_f64 v[143:144], v[34:35], v[67:68]
	v_mul_f64 v[145:146], v[102:103], v[47:48]
	v_mul_f64 v[147:148], v[30:31], v[47:48]
	v_mul_f64 v[149:150], v[108:109], v[67:68]
	v_mul_f64 v[151:152], v[24:25], v[67:68]
	v_mul_f64 v[153:154], v[112:113], v[47:48]
	v_mul_f64 v[155:156], v[20:21], v[47:48]
	v_mul_f64 v[157:158], v[110:111], v[67:68]
	v_mul_f64 v[159:160], v[26:27], v[67:68]
	v_mul_f64 v[161:162], v[114:115], v[47:48]
	v_mul_f64 v[47:48], v[22:23], v[47:48]
	v_mul_f64 v[163:164], v[2:3], v[67:68]
	v_mul_f64 v[67:68], v[0:1], v[67:68]
	v_fma_f64 v[6:7], v[6:7], v[45:46], -v[49:50]
	v_fma_f64 v[49:50], v[75:76], v[45:46], v[54:55]
	v_fma_f64 v[40:41], v[40:41], v[65:66], -v[58:59]
	v_fma_f64 v[54:55], v[84:85], v[65:66], v[62:63]
	;; [unrolled: 2-line block ×14, first 2 shown]
	v_add_f64 v[47:48], v[16:17], v[6:7]
	v_add_f64 v[65:66], v[6:7], v[40:41]
	v_add_f64 v[67:68], v[49:50], -v[54:55]
	v_add_f64 v[100:101], v[69:70], v[49:50]
	v_add_f64 v[49:50], v[49:50], v[54:55]
	v_add_f64 v[6:7], v[6:7], -v[40:41]
	v_add_f64 v[110:111], v[58:59], -v[62:63]
	v_add_f64 v[112:113], v[71:72], v[58:59]
	v_add_f64 v[58:59], v[58:59], v[62:63]
	v_add_f64 v[118:119], v[75:76], -v[77:78]
	v_add_f64 v[120:121], v[92:93], v[75:76]
	v_add_f64 v[75:76], v[75:76], v[77:78]
	;; [unrolled: 1-line block ×3, first 2 shown]
	v_fma_f64 v[16:17], v[65:66], -0.5, v[16:17]
	v_fma_f64 v[47:48], v[49:50], -0.5, v[69:70]
	v_add_f64 v[102:103], v[18:19], v[36:37]
	v_add_f64 v[108:109], v[36:37], v[42:43]
	v_add_f64 v[36:37], v[36:37], -v[42:43]
	v_add_f64 v[114:115], v[12:13], v[38:39]
	v_add_f64 v[116:117], v[38:39], v[32:33]
	v_add_f64 v[38:39], v[38:39], -v[32:33]
	v_add_f64 v[122:123], v[28:29], v[34:35]
	v_add_f64 v[50:51], v[112:113], v[62:63]
	v_fma_f64 v[58:59], v[58:59], -0.5, v[71:72]
	v_fma_f64 v[62:63], v[75:76], -0.5, v[92:93]
	v_fma_f64 v[65:66], v[67:68], s[2:3], v[16:17]
	v_fma_f64 v[16:17], v[67:68], s[6:7], v[16:17]
	;; [unrolled: 1-line block ×4, first 2 shown]
	v_add_f64 v[47:48], v[14:15], v[28:29]
	v_add_f64 v[54:55], v[100:101], v[54:55]
	v_fma_f64 v[71:72], v[36:37], s[6:7], v[58:59]
	v_fma_f64 v[75:76], v[36:37], s[2:3], v[58:59]
	v_add_f64 v[58:59], v[84:85], v[86:87]
	v_fma_f64 v[14:15], v[122:123], -0.5, v[14:15]
	v_add_f64 v[92:93], v[84:85], -v[86:87]
	v_fma_f64 v[100:101], v[38:39], s[6:7], v[62:63]
	v_add_f64 v[84:85], v[94:95], v[84:85]
	v_fma_f64 v[62:63], v[38:39], s[2:3], v[62:63]
	v_add_f64 v[38:39], v[47:48], v[34:35]
	v_add_f64 v[47:48], v[30:31], v[24:25]
	v_fma_f64 v[58:59], v[58:59], -0.5, v[94:95]
	v_add_f64 v[28:29], v[28:29], -v[34:35]
	v_fma_f64 v[34:35], v[92:93], s[2:3], v[14:15]
	v_fma_f64 v[14:15], v[92:93], s[6:7], v[14:15]
	v_add_f64 v[84:85], v[84:85], v[86:87]
	v_add_f64 v[86:87], v[88:89], v[90:91]
	;; [unrolled: 1-line block ×3, first 2 shown]
	v_fma_f64 v[8:9], v[47:48], -0.5, v[8:9]
	v_add_f64 v[47:48], v[88:89], -v[90:91]
	v_add_f64 v[42:43], v[102:103], v[42:43]
	v_fma_f64 v[18:19], v[108:109], -0.5, v[18:19]
	v_fma_f64 v[94:95], v[28:29], s[6:7], v[58:59]
	v_add_f64 v[102:103], v[20:21], v[26:27]
	v_fma_f64 v[108:109], v[28:29], s[2:3], v[58:59]
	v_add_f64 v[28:29], v[104:105], v[88:89]
	v_fma_f64 v[58:59], v[86:87], -0.5, v[104:105]
	v_add_f64 v[30:31], v[30:31], -v[24:25]
	v_fma_f64 v[86:87], v[47:48], s[2:3], v[8:9]
	v_add_f64 v[88:89], v[10:11], v[20:21]
	v_fma_f64 v[8:9], v[47:48], s[6:7], v[8:9]
	v_add_f64 v[47:48], v[22:23], v[0:1]
	v_add_f64 v[24:25], v[92:93], v[24:25]
	v_fma_f64 v[10:11], v[102:103], -0.5, v[10:11]
	v_add_f64 v[92:93], v[96:97], -v[98:99]
	v_fma_f64 v[102:103], v[30:31], s[6:7], v[58:59]
	v_fma_f64 v[104:105], v[30:31], s[2:3], v[58:59]
	v_add_f64 v[30:31], v[88:89], v[26:27]
	v_add_f64 v[88:89], v[45:46], v[2:3]
	v_add_f64 v[20:21], v[20:21], -v[26:27]
	v_add_f64 v[26:27], v[4:5], v[22:23]
	v_fma_f64 v[4:5], v[47:48], -0.5, v[4:5]
	v_add_f64 v[47:48], v[45:46], -v[2:3]
	v_add_f64 v[45:46], v[73:74], v[45:46]
	v_add_f64 v[90:91], v[28:29], v[90:91]
	;; [unrolled: 1-line block ×3, first 2 shown]
	v_fma_f64 v[58:59], v[92:93], s[2:3], v[10:11]
	v_fma_f64 v[10:11], v[92:93], s[6:7], v[10:11]
	v_add_f64 v[92:93], v[106:107], v[96:97]
	v_fma_f64 v[12:13], v[116:117], -0.5, v[12:13]
	v_add_f64 v[32:33], v[114:115], v[32:33]
	v_add_f64 v[96:97], v[45:46], v[2:3]
	v_lshrrev_b32_e32 v2, 2, v134
	v_mul_u32_u24_e32 v2, 12, v2
	v_or_b32_e32 v2, v2, v79
	v_lshl_add_u32 v45, v2, 3, 0
	v_lshrrev_b32_e32 v2, 2, v135
	v_mul_u32_u24_e32 v2, 12, v2
	v_or_b32_e32 v2, v2, v79
	ds_write2_b64 v45, v[40:41], v[65:66] offset1:4
	ds_write_b64 v45, v[16:17] offset:64
	v_lshl_add_u32 v40, v2, 3, 0
	v_lshrrev_b32_e32 v2, 2, v56
	v_mul_u32_u24_e32 v2, 12, v2
	v_or_b32_e32 v2, v2, v79
	v_lshl_add_u32 v41, v2, 3, 0
	v_lshrrev_b32_e32 v2, 2, v57
	v_fma_f64 v[6:7], v[110:111], s[2:3], v[18:19]
	v_fma_f64 v[36:37], v[118:119], s[2:3], v[12:13]
	v_mul_u32_u24_e32 v2, 12, v2
	v_fma_f64 v[18:19], v[110:111], s[6:7], v[18:19]
	v_fma_f64 v[12:13], v[118:119], s[6:7], v[12:13]
	v_or_b32_e32 v2, v2, v79
	v_lshl_add_u32 v65, v2, 3, 0
	v_lshrrev_b32_e32 v2, 2, v60
	v_fma_f64 v[28:29], v[28:29], -0.5, v[106:107]
	v_fma_f64 v[73:74], v[88:89], -0.5, v[73:74]
	v_add_f64 v[22:23], v[22:23], -v[0:1]
	v_mul_u32_u24_e32 v2, 12, v2
	v_add_f64 v[0:1], v[26:27], v[0:1]
	v_fma_f64 v[26:27], v[47:48], s[2:3], v[4:5]
	v_or_b32_e32 v2, v2, v79
	v_fma_f64 v[4:5], v[47:48], s[6:7], v[4:5]
	v_lshl_add_u32 v66, v2, 3, 0
	v_lshrrev_b32_e32 v2, 2, v61
	v_mul_u32_u24_e32 v2, 12, v2
	v_or_b32_e32 v2, v2, v79
	v_add_f64 v[77:78], v[120:121], v[77:78]
	ds_write2_b64 v40, v[42:43], v[6:7] offset1:4
	ds_write_b64 v40, v[18:19] offset:64
	ds_write2_b64 v41, v[32:33], v[36:37] offset1:4
	ds_write_b64 v41, v[12:13] offset:64
	;; [unrolled: 2-line block ×4, first 2 shown]
	v_lshl_add_u32 v24, v2, 3, 0
	v_lshrrev_b32_e32 v2, 2, v64
	v_mul_u32_u24_e32 v2, 12, v2
	v_or_b32_e32 v2, v2, v79
	v_add_f64 v[88:89], v[92:93], v[98:99]
	v_fma_f64 v[92:93], v[20:21], s[6:7], v[28:29]
	v_fma_f64 v[20:21], v[20:21], s[2:3], v[28:29]
	;; [unrolled: 1-line block ×4, first 2 shown]
	v_lshl_add_u32 v25, v2, 3, 0
	s_movk_i32 s2, 0xab
	ds_write2_b64 v24, v[30:31], v[58:59] offset1:4
	ds_write_b64 v24, v[10:11] offset:64
	ds_write2_b64 v25, v[0:1], v[26:27] offset1:4
	ds_write_b64 v25, v[4:5] offset:64
	s_waitcnt lgkmcnt(0)
	; wave barrier
	s_waitcnt lgkmcnt(0)
	ds_read2_b64 v[4:7], v136 offset1:44
	ds_read2_b64 v[0:3], v136 offset0:88 offset1:132
	ds_read2_b64 v[8:11], v53 offset0:8 offset1:52
	;; [unrolled: 1-line block ×9, first 2 shown]
	ds_read_b64 v[42:43], v136 offset:7040
	s_waitcnt lgkmcnt(0)
	; wave barrier
	s_waitcnt lgkmcnt(0)
	ds_write2_b64 v45, v[54:55], v[67:68] offset1:4
	ds_write_b64 v45, v[69:70] offset:64
	ds_write2_b64 v40, v[50:51], v[71:72] offset1:4
	ds_write_b64 v40, v[75:76] offset:64
	;; [unrolled: 2-line block ×7, first 2 shown]
	v_mul_lo_u16_sdwa v20, v134, s2 dst_sel:DWORD dst_unused:UNUSED_PAD src0_sel:BYTE_0 src1_sel:DWORD
	v_lshrrev_b16_e32 v40, 11, v20
	v_mul_lo_u16_e32 v20, 12, v40
	v_sub_u16_e32 v41, v134, v20
	v_mov_b32_e32 v20, 6
	v_mul_u32_u24_sdwa v21, v41, v20 dst_sel:DWORD dst_unused:UNUSED_PAD src0_sel:BYTE_0 src1_sel:DWORD
	v_lshlrev_b32_e32 v21, 4, v21
	s_waitcnt lgkmcnt(0)
	; wave barrier
	s_waitcnt lgkmcnt(0)
	global_load_dwordx4 v[61:64], v21, s[8:9] offset:160
	global_load_dwordx4 v[65:68], v21, s[8:9] offset:176
	;; [unrolled: 1-line block ×6, first 2 shown]
	v_mul_lo_u16_sdwa v21, v135, s2 dst_sel:DWORD dst_unused:UNUSED_PAD src0_sel:BYTE_0 src1_sel:DWORD
	v_lshrrev_b16_e32 v203, 11, v21
	v_mul_lo_u16_e32 v21, 12, v203
	v_sub_u16_e32 v204, v135, v21
	v_mul_u32_u24_sdwa v21, v204, v20 dst_sel:DWORD dst_unused:UNUSED_PAD src0_sel:BYTE_0 src1_sel:DWORD
	v_lshlrev_b32_e32 v21, 4, v21
	global_load_dwordx4 v[118:121], v21, s[8:9] offset:160
	global_load_dwordx4 v[122:125], v21, s[8:9] offset:176
	;; [unrolled: 1-line block ×6, first 2 shown]
	v_mul_lo_u16_sdwa v21, v56, s2 dst_sel:DWORD dst_unused:UNUSED_PAD src0_sel:BYTE_0 src1_sel:DWORD
	v_lshrrev_b16_e32 v205, 11, v21
	v_mul_lo_u16_e32 v21, 12, v205
	v_sub_u16_e32 v206, v56, v21
	v_mul_u32_u24_sdwa v20, v206, v20 dst_sel:DWORD dst_unused:UNUSED_PAD src0_sel:BYTE_0 src1_sel:DWORD
	v_lshlrev_b32_e32 v20, 4, v20
	global_load_dwordx4 v[149:152], v20, s[8:9] offset:160
	global_load_dwordx4 v[153:156], v20, s[8:9] offset:176
	global_load_dwordx4 v[157:160], v20, s[8:9] offset:192
	global_load_dwordx4 v[161:164], v20, s[8:9] offset:208
	global_load_dwordx4 v[165:168], v20, s[8:9] offset:224
	global_load_dwordx4 v[169:172], v20, s[8:9] offset:240
	ds_read2_b64 v[24:27], v136 offset1:44
	ds_read2_b64 v[20:23], v136 offset0:88 offset1:132
	ds_read2_b64 v[100:103], v53 offset0:8 offset1:52
	;; [unrolled: 1-line block ×9, first 2 shown]
	s_mov_b32 s6, 0x36b3c0b5
	s_mov_b32 s7, 0x3fac98ee
	ds_read_b64 v[201:202], v136 offset:7040
	v_mul_u32_u24_e32 v40, 0x2a0, v40
	s_waitcnt lgkmcnt(0)
	; wave barrier
	s_waitcnt lgkmcnt(0)
	v_cmp_gt_u32_e64 s[2:3], 40, v134
	s_waitcnt vmcnt(17)
	v_mul_f64 v[44:45], v[22:23], v[63:64]
	s_waitcnt vmcnt(16)
	v_mul_f64 v[54:55], v[100:101], v[67:68]
	v_mul_f64 v[50:51], v[2:3], v[63:64]
	;; [unrolled: 1-line block ×3, first 2 shown]
	s_waitcnt vmcnt(15)
	v_mul_f64 v[67:68], v[175:176], v[71:72]
	v_fma_f64 v[92:93], v[2:3], v[61:62], -v[44:45]
	v_fma_f64 v[94:95], v[8:9], v[65:66], -v[54:55]
	v_mul_f64 v[2:3], v[14:15], v[71:72]
	s_waitcnt vmcnt(14)
	v_mul_f64 v[8:9], v[177:178], v[75:76]
	v_fma_f64 v[98:99], v[14:15], v[69:70], -v[67:68]
	v_mul_f64 v[14:15], v[16:17], v[75:76]
	s_waitcnt vmcnt(12)
	v_mul_f64 v[44:45], v[38:39], v[90:91]
	v_fma_f64 v[96:97], v[22:23], v[61:62], v[50:51]
	v_mul_f64 v[22:23], v[183:184], v[90:91]
	v_mul_f64 v[50:51], v[185:186], v[86:87]
	v_fma_f64 v[104:105], v[175:176], v[69:70], v[2:3]
	v_fma_f64 v[106:107], v[16:17], v[73:74], -v[8:9]
	v_mul_f64 v[2:3], v[28:29], v[86:87]
	s_waitcnt vmcnt(11)
	v_mul_f64 v[8:9], v[189:190], v[120:121]
	v_fma_f64 v[108:109], v[177:178], v[73:74], v[14:15]
	v_fma_f64 v[114:115], v[183:184], v[88:89], v[44:45]
	v_mul_f64 v[14:15], v[32:33], v[120:121]
	s_waitcnt vmcnt(10)
	v_mul_f64 v[16:17], v[102:103], v[124:125]
	v_fma_f64 v[100:101], v[100:101], v[65:66], v[63:64]
	v_fma_f64 v[112:113], v[38:39], v[88:89], -v[22:23]
	v_fma_f64 v[116:117], v[185:186], v[84:85], v[2:3]
	v_fma_f64 v[44:45], v[32:33], v[118:119], -v[8:9]
	v_mul_f64 v[2:3], v[10:11], v[124:125]
	s_waitcnt vmcnt(9)
	v_mul_f64 v[8:9], v[193:194], v[128:129]
	v_fma_f64 v[110:111], v[28:29], v[84:85], -v[50:51]
	s_waitcnt vmcnt(8)
	v_mul_f64 v[28:29], v[179:180], v[139:140]
	v_fma_f64 v[88:89], v[189:190], v[118:119], v[14:15]
	v_fma_f64 v[64:65], v[10:11], v[122:123], -v[16:17]
	v_mul_f64 v[10:11], v[18:19], v[139:140]
	s_waitcnt vmcnt(7)
	v_mul_f64 v[14:15], v[197:198], v[143:144]
	v_fma_f64 v[84:85], v[102:103], v[122:123], v[2:3]
	v_fma_f64 v[68:69], v[46:47], v[126:127], -v[8:9]
	v_mul_f64 v[2:3], v[57:58], v[143:144]
	s_waitcnt vmcnt(6)
	v_mul_f64 v[8:9], v[187:188], v[147:148]
	v_mul_f64 v[22:23], v[46:47], v[128:129]
	v_fma_f64 v[70:71], v[18:19], v[137:138], -v[28:29]
	v_fma_f64 v[78:79], v[179:180], v[137:138], v[10:11]
	v_fma_f64 v[72:73], v[57:58], v[141:142], -v[14:15]
	v_mul_f64 v[10:11], v[30:31], v[147:148]
	s_waitcnt vmcnt(5)
	v_mul_f64 v[14:15], v[191:192], v[151:152]
	s_waitcnt vmcnt(4)
	v_mul_f64 v[18:19], v[173:174], v[155:156]
	v_fma_f64 v[90:91], v[197:198], v[141:142], v[2:3]
	v_fma_f64 v[76:77], v[30:31], v[145:146], -v[8:9]
	v_mul_f64 v[2:3], v[12:13], v[155:156]
	s_waitcnt vmcnt(3)
	v_mul_f64 v[8:9], v[195:196], v[159:160]
	v_fma_f64 v[74:75], v[193:194], v[126:127], v[22:23]
	v_mul_f64 v[16:17], v[34:35], v[151:152]
	v_fma_f64 v[102:103], v[187:188], v[145:146], v[10:11]
	v_fma_f64 v[22:23], v[34:35], v[149:150], -v[14:15]
	v_fma_f64 v[28:29], v[12:13], v[153:154], -v[18:19]
	v_mul_f64 v[10:11], v[48:49], v[159:160]
	s_waitcnt vmcnt(2)
	v_mul_f64 v[12:13], v[181:182], v[163:164]
	v_fma_f64 v[34:35], v[173:174], v[153:154], v[2:3]
	v_fma_f64 v[30:31], v[48:49], v[157:158], -v[8:9]
	v_add_f64 v[2:3], v[92:93], v[110:111]
	v_add_f64 v[8:9], v[94:95], v[112:113]
	v_fma_f64 v[32:33], v[191:192], v[149:150], v[16:17]
	v_mul_f64 v[14:15], v[36:37], v[163:164]
	s_waitcnt vmcnt(1)
	v_mul_f64 v[16:17], v[199:200], v[167:168]
	v_fma_f64 v[38:39], v[195:196], v[157:158], v[10:11]
	v_fma_f64 v[36:37], v[36:37], v[161:162], -v[12:13]
	v_add_f64 v[10:11], v[100:101], -v[114:115]
	v_add_f64 v[12:13], v[98:99], v[106:107]
	v_add_f64 v[18:19], v[108:109], -v[104:105]
	v_add_f64 v[48:49], v[8:9], v[2:3]
	v_fma_f64 v[66:67], v[181:182], v[161:162], v[14:15]
	v_fma_f64 v[46:47], v[59:60], v[165:166], -v[16:17]
	v_mul_f64 v[14:15], v[59:60], v[167:168]
	v_add_f64 v[50:51], v[96:97], -v[116:117]
	v_add_f64 v[58:59], v[8:9], -v[2:3]
	;; [unrolled: 1-line block ×3, first 2 shown]
	v_add_f64 v[56:57], v[18:19], v[10:11]
	v_add_f64 v[48:49], v[12:13], v[48:49]
	v_add_f64 v[8:9], v[12:13], -v[8:9]
	v_add_f64 v[12:13], v[18:19], -v[10:11]
	s_waitcnt vmcnt(0)
	v_mul_f64 v[16:17], v[201:202], v[171:172]
	v_add_f64 v[18:19], v[50:51], -v[18:19]
	v_add_f64 v[10:11], v[10:11], -v[50:51]
	v_mul_f64 v[2:3], v[2:3], s[10:11]
	v_add_f64 v[50:51], v[56:57], v[50:51]
	v_add_f64 v[56:57], v[4:5], v[48:49]
	v_mul_f64 v[4:5], v[8:9], s[6:7]
	v_mul_f64 v[12:13], v[12:13], s[16:17]
	;; [unrolled: 1-line block ×3, first 2 shown]
	v_fma_f64 v[120:121], v[199:200], v[165:166], v[14:15]
	v_mul_f64 v[60:61], v[10:11], s[12:13]
	v_fma_f64 v[8:9], v[8:9], s[6:7], v[2:3]
	v_fma_f64 v[2:3], v[58:59], s[22:23], -v[2:3]
	v_fma_f64 v[48:49], v[48:49], s[18:19], v[56:57]
	v_fma_f64 v[4:5], v[58:59], s[20:21], -v[4:5]
	;; [unrolled: 2-line block ×3, first 2 shown]
	v_fma_f64 v[118:119], v[42:43], v[169:170], -v[16:17]
	v_fma_f64 v[18:19], v[18:19], s[28:29], -v[60:61]
	v_fma_f64 v[122:123], v[201:202], v[169:170], v[54:55]
	v_add_f64 v[14:15], v[68:69], v[70:71]
	v_add_f64 v[8:9], v[8:9], v[48:49]
	;; [unrolled: 1-line block ×4, first 2 shown]
	v_fma_f64 v[12:13], v[50:51], s[26:27], v[58:59]
	v_add_f64 v[48:49], v[44:45], v[76:77]
	v_add_f64 v[58:59], v[64:65], v[72:73]
	v_fma_f64 v[10:11], v[50:51], s[26:27], v[10:11]
	v_fma_f64 v[18:19], v[50:51], s[26:27], v[18:19]
	v_add_f64 v[60:61], v[84:85], -v[90:91]
	v_add_f64 v[62:63], v[78:79], -v[74:75]
	;; [unrolled: 1-line block ×3, first 2 shown]
	v_add_f64 v[42:43], v[12:13], v[8:9]
	v_add_f64 v[127:128], v[8:9], -v[12:13]
	v_add_f64 v[16:17], v[58:59], v[48:49]
	v_add_f64 v[54:55], v[4:5], -v[10:11]
	;; [unrolled: 2-line block ×4, first 2 shown]
	v_add_f64 v[8:9], v[48:49], -v[14:15]
	v_add_f64 v[10:11], v[14:15], -v[58:59]
	v_add_f64 v[2:3], v[14:15], v[16:17]
	v_add_f64 v[12:13], v[62:63], v[60:61]
	v_add_f64 v[14:15], v[62:63], -v[60:61]
	v_add_f64 v[16:17], v[60:61], -v[4:5]
	;; [unrolled: 1-line block ×4, first 2 shown]
	v_add_f64 v[60:61], v[22:23], v[118:119]
	v_add_f64 v[62:63], v[28:29], v[46:47]
	;; [unrolled: 1-line block ×3, first 2 shown]
	v_mul_f64 v[6:7], v[8:9], s[10:11]
	v_mul_f64 v[8:9], v[10:11], s[6:7]
	v_add_f64 v[4:5], v[12:13], v[4:5]
	v_mul_f64 v[12:13], v[14:15], s[16:17]
	v_mul_f64 v[14:15], v[16:17], s[12:13]
	v_add_f64 v[141:142], v[32:33], -v[122:123]
	v_add_f64 v[137:138], v[62:63], v[60:61]
	v_fma_f64 v[2:3], v[2:3], s[18:19], v[58:59]
	v_fma_f64 v[10:11], v[10:11], s[6:7], v[6:7]
	v_fma_f64 v[8:9], v[18:19], s[20:21], -v[8:9]
	v_fma_f64 v[6:7], v[18:19], s[22:23], -v[6:7]
	v_fma_f64 v[18:19], v[48:49], s[24:25], v[12:13]
	v_fma_f64 v[12:13], v[16:17], s[12:13], -v[12:13]
	v_add_f64 v[16:17], v[30:31], v[36:37]
	v_fma_f64 v[14:15], v[48:49], s[28:29], -v[14:15]
	v_add_f64 v[48:49], v[34:35], -v[120:121]
	v_add_f64 v[10:11], v[10:11], v[2:3]
	v_add_f64 v[8:9], v[8:9], v[2:3]
	;; [unrolled: 1-line block ×3, first 2 shown]
	v_fma_f64 v[18:19], v[4:5], s[26:27], v[18:19]
	v_fma_f64 v[12:13], v[4:5], s[26:27], v[12:13]
	v_add_f64 v[137:138], v[16:17], v[137:138]
	v_add_f64 v[143:144], v[60:61], -v[16:17]
	v_add_f64 v[16:17], v[16:17], -v[62:63]
	v_add_f64 v[145:146], v[139:140], -v[48:49]
	v_add_f64 v[147:148], v[48:49], -v[141:142]
	v_add_f64 v[60:61], v[62:63], -v[60:61]
	v_add_f64 v[48:49], v[139:140], v[48:49]
	v_add_f64 v[139:140], v[141:142], -v[139:140]
	v_add_f64 v[6:7], v[0:1], v[137:138]
	v_mul_f64 v[0:1], v[143:144], s[10:11]
	v_mul_f64 v[62:63], v[16:17], s[6:7]
	v_mul_f64 v[143:144], v[145:146], s[16:17]
	v_mul_f64 v[145:146], v[147:148], s[12:13]
	v_fma_f64 v[4:5], v[4:5], s[26:27], v[14:15]
	v_add_f64 v[48:49], v[48:49], v[141:142]
	v_fma_f64 v[137:138], v[137:138], s[18:19], v[6:7]
	v_fma_f64 v[16:17], v[16:17], s[6:7], v[0:1]
	v_fma_f64 v[62:63], v[60:61], s[20:21], -v[62:63]
	v_fma_f64 v[0:1], v[60:61], s[22:23], -v[0:1]
	v_fma_f64 v[60:61], v[139:140], s[24:25], v[143:144]
	v_fma_f64 v[139:140], v[139:140], s[28:29], -v[145:146]
	v_fma_f64 v[141:142], v[147:148], s[12:13], -v[143:144]
	v_add_f64 v[143:144], v[18:19], v[10:11]
	v_add_f64 v[145:146], v[16:17], v[137:138]
	;; [unrolled: 1-line block ×4, first 2 shown]
	v_fma_f64 v[60:61], v[48:49], s[26:27], v[60:61]
	v_fma_f64 v[62:63], v[48:49], s[26:27], v[139:140]
	v_fma_f64 v[48:49], v[48:49], s[26:27], v[141:142]
	v_add_f64 v[139:140], v[8:9], -v[12:13]
	v_add_f64 v[0:1], v[12:13], v[8:9]
	v_add_f64 v[137:138], v[4:5], v[2:3]
	v_add_f64 v[2:3], v[2:3], -v[4:5]
	v_add_f64 v[4:5], v[10:11], -v[18:19]
	v_add_f64 v[8:9], v[60:61], v[145:146]
	v_add_f64 v[10:11], v[62:63], v[16:17]
	v_add_f64 v[12:13], v[14:15], -v[48:49]
	v_add_f64 v[14:15], v[48:49], v[14:15]
	v_add_f64 v[16:17], v[16:17], -v[62:63]
	v_add_f64 v[18:19], v[145:146], -v[60:61]
	v_mov_b32_e32 v48, 3
	v_lshlrev_b32_sdwa v41, v48, v41 dst_sel:DWORD dst_unused:UNUSED_PAD src0_sel:DWORD src1_sel:BYTE_0
	v_add3_u32 v124, 0, v40, v41
	v_mul_u32_u24_e32 v40, 0x2a0, v203
	v_lshlrev_b32_sdwa v41, v48, v204 dst_sel:DWORD dst_unused:UNUSED_PAD src0_sel:DWORD src1_sel:BYTE_0
	ds_write2_b64 v124, v[56:57], v[42:43] offset1:12
	ds_write2_b64 v124, v[50:51], v[54:55] offset0:24 offset1:36
	ds_write2_b64 v124, v[86:87], v[125:126] offset0:48 offset1:60
	ds_write_b64 v124, v[127:128] offset:576
	v_add3_u32 v125, 0, v40, v41
	v_mul_u32_u24_e32 v40, 0x2a0, v205
	v_lshlrev_b32_sdwa v41, v48, v206 dst_sel:DWORD dst_unused:UNUSED_PAD src0_sel:DWORD src1_sel:BYTE_0
	v_add3_u32 v126, 0, v40, v41
	v_add_u32_e32 v127, 0xc00, v136
	ds_write2_b64 v125, v[58:59], v[143:144] offset1:12
	ds_write2_b64 v125, v[137:138], v[139:140] offset0:24 offset1:36
	ds_write2_b64 v125, v[0:1], v[2:3] offset0:48 offset1:60
	ds_write_b64 v125, v[4:5] offset:576
	ds_write2_b64 v126, v[6:7], v[8:9] offset1:12
	ds_write2_b64 v126, v[10:11], v[12:13] offset0:24 offset1:36
	ds_write2_b64 v126, v[14:15], v[16:17] offset0:48 offset1:60
	ds_write_b64 v126, v[18:19] offset:576
	s_waitcnt lgkmcnt(0)
	; wave barrier
	s_waitcnt lgkmcnt(0)
	ds_read2_b64 v[40:43], v136 offset1:84
	ds_read2_b64 v[48:51], v136 offset0:168 offset1:252
	ds_read2_b64 v[56:59], v53 offset0:80 offset1:164
	;; [unrolled: 1-line block ×4, first 2 shown]
	ds_read_b64 v[86:87], v136 offset:6720
	s_and_saveexec_b64 s[30:31], s[2:3]
	s_cbranch_execz .LBB0_29
; %bb.28:
	v_add_u32_e32 v4, 0x400, v136
	v_add_u32_e32 v8, 0x800, v136
	v_add_u32_e32 v12, 0x1000, v136
	v_add_u32_e32 v16, 0x1400, v136
	ds_read2_b64 v[0:3], v136 offset0:44 offset1:128
	ds_read2_b64 v[4:7], v4 offset0:84 offset1:168
	;; [unrolled: 1-line block ×5, first 2 shown]
	ds_read_b64 v[80:81], v136 offset:7072
.LBB0_29:
	s_or_b64 exec, exec, s[30:31]
	v_add_f64 v[96:97], v[96:97], v[116:117]
	v_add_f64 v[100:101], v[100:101], v[114:115]
	v_add_f64 v[94:95], v[94:95], -v[112:113]
	v_add_f64 v[104:105], v[104:105], v[108:109]
	v_add_f64 v[98:99], v[106:107], -v[98:99]
	v_add_f64 v[92:93], v[92:93], -v[110:111]
	v_add_f64 v[88:89], v[88:89], v[102:103]
	v_add_f64 v[84:85], v[84:85], v[90:91]
	;; [unrolled: 1-line block ×4, first 2 shown]
	v_add_f64 v[64:65], v[64:65], -v[72:73]
	v_add_f64 v[108:109], v[96:97], -v[104:105]
	v_add_f64 v[110:111], v[98:99], -v[94:95]
	v_add_f64 v[102:103], v[94:95], -v[92:93]
	v_add_f64 v[94:95], v[98:99], v[94:95]
	v_add_f64 v[98:99], v[92:93], -v[98:99]
	v_add_f64 v[78:79], v[84:85], v[88:89]
	v_add_f64 v[106:107], v[104:105], v[106:107]
	v_add_f64 v[104:105], v[104:105], -v[100:101]
	v_mul_f64 v[108:109], v[108:109], s[10:11]
	v_mul_f64 v[110:111], v[110:111], s[16:17]
	;; [unrolled: 1-line block ×3, first 2 shown]
	v_add_f64 v[92:93], v[94:95], v[92:93]
	v_add_f64 v[68:69], v[70:71], -v[68:69]
	v_add_f64 v[44:45], v[44:45], -v[76:77]
	v_add_f64 v[112:113], v[24:25], v[106:107]
	v_add_f64 v[24:25], v[100:101], -v[96:97]
	v_mul_f64 v[96:97], v[104:105], s[6:7]
	v_fma_f64 v[94:95], v[104:105], s[6:7], v[108:109]
	v_fma_f64 v[100:101], v[98:99], s[24:25], v[110:111]
	v_fma_f64 v[102:103], v[102:103], s[12:13], -v[110:111]
	v_fma_f64 v[90:91], v[98:99], s[28:29], -v[90:91]
	v_add_f64 v[70:71], v[88:89], -v[74:75]
	v_fma_f64 v[98:99], v[106:107], s[18:19], v[112:113]
	v_fma_f64 v[104:105], v[24:25], s[22:23], -v[108:109]
	v_fma_f64 v[24:25], v[24:25], s[20:21], -v[96:97]
	v_add_f64 v[72:73], v[74:75], v[78:79]
	v_fma_f64 v[96:97], v[92:93], s[26:27], v[100:101]
	v_fma_f64 v[100:101], v[92:93], s[26:27], v[102:103]
	;; [unrolled: 1-line block ×3, first 2 shown]
	v_add_f64 v[32:33], v[32:33], v[122:123]
	v_add_f64 v[92:93], v[94:95], v[98:99]
	;; [unrolled: 1-line block ×6, first 2 shown]
	v_add_f64 v[28:29], v[28:29], -v[46:47]
	v_add_f64 v[30:31], v[36:37], -v[30:31]
	;; [unrolled: 1-line block ×5, first 2 shown]
	v_add_f64 v[98:99], v[100:101], v[24:25]
	v_add_f64 v[100:101], v[24:25], -v[100:101]
	v_add_f64 v[90:91], v[90:91], v[94:95]
	v_add_f64 v[24:25], v[74:75], -v[84:85]
	;; [unrolled: 2-line block ×3, first 2 shown]
	v_add_f64 v[64:65], v[64:65], -v[44:45]
	v_add_f64 v[84:85], v[84:85], -v[88:89]
	;; [unrolled: 1-line block ×3, first 2 shown]
	v_add_f64 v[88:89], v[26:27], v[72:73]
	v_mul_f64 v[26:27], v[70:71], s[10:11]
	v_mul_f64 v[70:71], v[24:25], s[6:7]
	v_add_f64 v[44:45], v[74:75], v[44:45]
	v_mul_f64 v[74:75], v[94:95], s[16:17]
	v_add_f64 v[66:67], v[34:35], v[32:33]
	;; [unrolled: 2-line block ×3, first 2 shown]
	v_fma_f64 v[72:73], v[72:73], s[18:19], v[88:89]
	v_fma_f64 v[24:25], v[24:25], s[6:7], v[26:27]
	v_fma_f64 v[70:71], v[84:85], s[20:21], -v[70:71]
	v_fma_f64 v[26:27], v[84:85], s[22:23], -v[26:27]
	v_fma_f64 v[84:85], v[68:69], s[24:25], v[74:75]
	v_fma_f64 v[64:65], v[64:65], s[12:13], -v[74:75]
	v_add_f64 v[66:67], v[38:39], v[66:67]
	v_add_f64 v[74:75], v[30:31], -v[28:29]
	v_fma_f64 v[68:69], v[68:69], s[28:29], -v[94:95]
	v_add_f64 v[24:25], v[24:25], v[72:73]
	v_add_f64 v[36:37], v[70:71], v[72:73]
	;; [unrolled: 1-line block ×3, first 2 shown]
	v_add_f64 v[70:71], v[32:33], -v[38:39]
	v_add_f64 v[38:39], v[38:39], -v[34:35]
	v_fma_f64 v[72:73], v[44:45], s[26:27], v[84:85]
	v_add_f64 v[84:85], v[28:29], -v[22:23]
	v_add_f64 v[32:33], v[34:35], -v[32:33]
	v_add_f64 v[28:29], v[30:31], v[28:29]
	v_add_f64 v[26:27], v[20:21], v[66:67]
	v_add_f64 v[30:31], v[22:23], -v[30:31]
	v_mul_f64 v[20:21], v[70:71], s[10:11]
	v_mul_f64 v[34:35], v[38:39], s[6:7]
	;; [unrolled: 1-line block ×4, first 2 shown]
	v_fma_f64 v[64:65], v[44:45], s[26:27], v[64:65]
	v_add_f64 v[22:23], v[28:29], v[22:23]
	v_fma_f64 v[28:29], v[66:67], s[18:19], v[26:27]
	v_fma_f64 v[44:45], v[44:45], s[26:27], v[68:69]
	;; [unrolled: 1-line block ×3, first 2 shown]
	v_fma_f64 v[34:35], v[32:33], s[20:21], -v[34:35]
	v_fma_f64 v[20:21], v[32:33], s[22:23], -v[20:21]
	v_fma_f64 v[32:33], v[30:31], s[24:25], v[70:71]
	v_fma_f64 v[30:31], v[30:31], s[28:29], -v[74:75]
	v_fma_f64 v[66:67], v[84:85], s[12:13], -v[70:71]
	v_add_f64 v[68:69], v[24:25], -v[72:73]
	v_add_f64 v[94:95], v[46:47], -v[44:45]
	v_add_f64 v[38:39], v[38:39], v[28:29]
	v_add_f64 v[34:35], v[34:35], v[28:29]
	;; [unrolled: 1-line block ×3, first 2 shown]
	v_fma_f64 v[74:75], v[22:23], s[26:27], v[32:33]
	v_fma_f64 v[84:85], v[22:23], s[26:27], v[30:31]
	;; [unrolled: 1-line block ×3, first 2 shown]
	v_add_f64 v[96:97], v[64:65], v[36:37]
	v_add_f64 v[20:21], v[36:37], -v[64:65]
	v_add_f64 v[22:23], v[44:45], v[46:47]
	v_add_f64 v[24:25], v[72:73], v[24:25]
	s_waitcnt lgkmcnt(0)
	v_add_f64 v[28:29], v[38:39], -v[74:75]
	v_add_f64 v[30:31], v[70:71], -v[84:85]
	v_add_f64 v[32:33], v[66:67], v[34:35]
	v_add_f64 v[34:35], v[34:35], -v[66:67]
	v_add_f64 v[36:37], v[84:85], v[70:71]
	v_add_f64 v[38:39], v[74:75], v[38:39]
	v_add_u32_e32 v84, 0x800, v136
	v_add_u32_e32 v85, 0x1000, v136
	; wave barrier
	ds_write2_b64 v124, v[112:113], v[76:77] offset1:12
	ds_write2_b64 v124, v[78:79], v[98:99] offset0:24 offset1:36
	ds_write2_b64 v124, v[100:101], v[90:91] offset0:48 offset1:60
	ds_write_b64 v124, v[92:93] offset:576
	ds_write2_b64 v125, v[88:89], v[68:69] offset1:12
	ds_write2_b64 v125, v[94:95], v[96:97] offset0:24 offset1:36
	ds_write2_b64 v125, v[20:21], v[22:23] offset0:48 offset1:60
	ds_write_b64 v125, v[24:25] offset:576
	;; [unrolled: 4-line block ×3, first 2 shown]
	s_waitcnt lgkmcnt(0)
	; wave barrier
	s_waitcnt lgkmcnt(0)
	ds_read2_b64 v[44:47], v136 offset1:84
	ds_read2_b64 v[64:67], v136 offset0:168 offset1:252
	ds_read2_b64 v[72:75], v84 offset0:80 offset1:164
	;; [unrolled: 1-line block ×4, first 2 shown]
	ds_read_b64 v[88:89], v136 offset:6720
	s_and_saveexec_b64 s[6:7], s[2:3]
	s_cbranch_execz .LBB0_31
; %bb.30:
	v_add_u32_e32 v24, 0x400, v136
	ds_read2_b64 v[20:23], v136 offset0:44 offset1:128
	ds_read2_b64 v[24:27], v24 offset0:84 offset1:168
	;; [unrolled: 1-line block ×4, first 2 shown]
	v_add_u32_e32 v36, 0x1400, v136
	ds_read2_b64 v[36:39], v36 offset0:76 offset1:160
	ds_read_b64 v[82:83], v136 offset:7072
.LBB0_31:
	s_or_b64 exec, exec, s[6:7]
	s_and_saveexec_b64 s[6:7], s[0:1]
	s_cbranch_execz .LBB0_34
; %bb.32:
	v_mul_u32_u24_e32 v84, 10, v134
	v_lshlrev_b32_e32 v84, 4, v84
	global_load_dwordx4 v[90:93], v84, s[8:9] offset:1376
	global_load_dwordx4 v[94:97], v84, s[8:9] offset:1392
	;; [unrolled: 1-line block ×10, first 2 shown]
	v_mul_lo_u32 v136, s5, v132
	v_mul_lo_u32 v133, s4, v133
	v_mad_u64_u32 v[84:85], s[0:1], s4, v132, 0
	s_mov_b32 s18, 0x9bcd5057
	s_mov_b32 s30, 0xfd768dbf
	v_add3_u32 v85, v85, v133, v136
	s_mov_b32 s19, 0xbfeeb42a
	s_mov_b32 s31, 0x3fd207e7
	;; [unrolled: 1-line block ×29, first 2 shown]
	s_waitcnt vmcnt(9) lgkmcnt(3)
	v_mul_f64 v[132:133], v[74:75], v[90:91]
	s_waitcnt vmcnt(8) lgkmcnt(2)
	v_mul_f64 v[136:137], v[76:77], v[94:95]
	s_waitcnt vmcnt(7)
	v_mul_f64 v[138:139], v[72:73], v[98:99]
	v_mul_f64 v[72:73], v[72:73], v[100:101]
	;; [unrolled: 1-line block ×3, first 2 shown]
	s_waitcnt vmcnt(4) lgkmcnt(1)
	v_mul_f64 v[144:145], v[68:69], v[110:111]
	v_mul_f64 v[148:149], v[68:69], v[112:113]
	;; [unrolled: 1-line block ×3, first 2 shown]
	s_waitcnt vmcnt(1)
	v_mul_f64 v[158:159], v[46:47], v[122:123]
	s_waitcnt vmcnt(0) lgkmcnt(0)
	v_mul_f64 v[160:161], v[88:89], v[126:127]
	v_mul_f64 v[140:141], v[78:79], v[102:103]
	;; [unrolled: 1-line block ×10, first 2 shown]
	v_fma_f64 v[70:71], v[58:59], v[92:93], v[132:133]
	v_fma_f64 v[66:67], v[60:61], v[96:97], v[136:137]
	;; [unrolled: 1-line block ×3, first 2 shown]
	v_fma_f64 v[136:137], v[56:57], v[98:99], -v[72:73]
	v_fma_f64 v[56:57], v[52:53], v[112:113], v[144:145]
	v_fma_f64 v[52:53], v[52:53], v[110:111], -v[148:149]
	v_fma_f64 v[110:111], v[42:43], v[124:125], v[158:159]
	v_fma_f64 v[46:47], v[86:87], v[128:129], v[160:161]
	v_mul_f64 v[154:155], v[64:65], v[116:117]
	v_fma_f64 v[68:69], v[58:59], v[90:91], -v[74:75]
	v_fma_f64 v[64:65], v[60:61], v[94:95], -v[76:77]
	v_fma_f64 v[60:61], v[62:63], v[104:105], v[140:141]
	v_fma_f64 v[58:59], v[62:63], v[102:103], -v[78:79]
	v_fma_f64 v[78:79], v[50:51], v[108:109], v[142:143]
	;; [unrolled: 2-line block ×3, first 2 shown]
	v_fma_f64 v[50:51], v[54:55], v[120:121], v[152:153]
	v_fma_f64 v[112:113], v[42:43], v[122:123], -v[162:163]
	v_fma_f64 v[42:43], v[86:87], v[126:127], -v[88:89]
	v_add_f64 v[126:127], v[110:111], v[46:47]
	v_add_f64 v[140:141], v[110:111], -v[46:47]
	v_fma_f64 v[108:109], v[48:49], v[114:115], -v[154:155]
	v_fma_f64 v[48:49], v[54:55], v[118:119], -v[156:157]
	v_add_f64 v[118:119], v[78:79], v[56:57]
	v_add_f64 v[122:123], v[106:107], v[50:51]
	v_add_f64 v[150:151], v[106:107], -v[50:51]
	v_add_f64 v[128:129], v[112:113], -v[42:43]
	v_add_f64 v[152:153], v[112:113], v[42:43]
	v_mul_f64 v[74:75], v[126:127], s[18:19]
	v_mul_f64 v[76:77], v[140:141], s[28:29]
	v_add_f64 v[124:125], v[108:109], -v[48:49]
	v_add_f64 v[154:155], v[78:79], -v[56:57]
	v_add_f64 v[156:157], v[108:109], v[48:49]
	v_mul_f64 v[88:89], v[122:123], s[10:11]
	v_mul_f64 v[90:91], v[150:151], s[22:23]
	v_add_f64 v[116:117], v[132:133], v[60:61]
	v_fma_f64 v[94:95], v[128:129], s[30:31], v[74:75]
	v_fma_f64 v[96:97], v[152:153], s[18:19], v[76:77]
	v_fma_f64 v[74:75], v[128:129], s[28:29], v[74:75]
	v_add_f64 v[120:121], v[138:139], -v[52:53]
	v_add_f64 v[146:147], v[132:133], -v[60:61]
	v_add_f64 v[148:149], v[138:139], v[52:53]
	v_mul_f64 v[98:99], v[118:119], s[6:7]
	v_mul_f64 v[100:101], v[154:155], s[20:21]
	v_fma_f64 v[102:103], v[124:125], s[26:27], v[88:89]
	v_fma_f64 v[104:105], v[156:157], s[10:11], v[90:91]
	;; [unrolled: 1-line block ×3, first 2 shown]
	v_add_f64 v[94:95], v[44:45], v[94:95]
	v_add_f64 v[96:97], v[40:41], v[96:97]
	;; [unrolled: 1-line block ×4, first 2 shown]
	v_add_f64 v[72:73], v[136:137], -v[58:59]
	v_add_f64 v[142:143], v[70:71], -v[66:67]
	v_add_f64 v[144:145], v[136:137], v[58:59]
	v_mul_f64 v[92:93], v[116:117], s[4:5]
	v_mul_f64 v[160:161], v[146:147], s[16:17]
	v_fma_f64 v[162:163], v[120:121], s[36:37], v[98:99]
	v_fma_f64 v[164:165], v[148:149], s[6:7], v[100:101]
	;; [unrolled: 1-line block ×3, first 2 shown]
	v_add_f64 v[94:95], v[102:103], v[94:95]
	v_add_f64 v[96:97], v[104:105], v[96:97]
	;; [unrolled: 1-line block ×3, first 2 shown]
	v_add_f64 v[54:55], v[68:69], -v[64:65]
	v_add_f64 v[62:63], v[68:69], v[64:65]
	v_mul_f64 v[86:87], v[114:115], s[0:1]
	v_mul_f64 v[158:159], v[142:143], s[12:13]
	;; [unrolled: 1-line block ×3, first 2 shown]
	v_fma_f64 v[88:89], v[72:73], s[34:35], v[92:93]
	v_fma_f64 v[104:105], v[144:145], s[4:5], v[160:161]
	;; [unrolled: 1-line block ×3, first 2 shown]
	v_fma_f64 v[76:77], v[152:153], s[18:19], -v[76:77]
	v_add_f64 v[94:95], v[162:163], v[94:95]
	v_add_f64 v[96:97], v[164:165], v[96:97]
	;; [unrolled: 1-line block ×3, first 2 shown]
	v_fma_f64 v[98:99], v[54:55], s[24:25], v[86:87]
	v_fma_f64 v[162:163], v[62:63], s[0:1], v[158:159]
	;; [unrolled: 1-line block ×3, first 2 shown]
	v_fma_f64 v[90:91], v[156:157], s[10:11], -v[90:91]
	v_add_f64 v[76:77], v[40:41], v[76:77]
	v_add_f64 v[88:89], v[88:89], v[94:95]
	;; [unrolled: 1-line block ×4, first 2 shown]
	v_mul_f64 v[96:97], v[122:123], s[0:1]
	v_mul_f64 v[104:105], v[140:141], s[20:21]
	v_fma_f64 v[164:165], v[128:129], s[36:37], v[102:103]
	v_fma_f64 v[100:101], v[148:149], s[6:7], -v[100:101]
	v_add_f64 v[90:91], v[90:91], v[76:77]
	v_add_f64 v[76:77], v[98:99], v[88:89]
	;; [unrolled: 1-line block ×4, first 2 shown]
	v_fma_f64 v[86:87], v[144:145], s[4:5], -v[160:161]
	v_mul_f64 v[92:93], v[118:119], s[10:11]
	v_mul_f64 v[94:95], v[150:151], s[24:25]
	v_fma_f64 v[98:99], v[152:153], s[6:7], v[104:105]
	v_fma_f64 v[160:161], v[124:125], s[12:13], v[96:97]
	v_add_f64 v[162:163], v[44:45], v[164:165]
	v_add_f64 v[90:91], v[100:101], v[90:91]
	v_fma_f64 v[100:101], v[62:63], s[0:1], -v[158:159]
	v_mul_f64 v[158:159], v[116:117], s[18:19]
	v_mul_f64 v[164:165], v[154:155], s[26:27]
	v_fma_f64 v[166:167], v[156:157], s[0:1], v[94:95]
	v_add_f64 v[98:99], v[40:41], v[98:99]
	v_fma_f64 v[168:169], v[120:121], s[22:23], v[92:93]
	v_add_f64 v[160:161], v[160:161], v[162:163]
	;; [unrolled: 2-line block ×3, first 2 shown]
	v_mul_f64 v[162:163], v[146:147], s[28:29]
	v_mul_f64 v[170:171], v[114:115], s[4:5]
	v_fma_f64 v[90:91], v[148:149], s[10:11], v[164:165]
	v_add_f64 v[98:99], v[166:167], v[98:99]
	v_fma_f64 v[166:167], v[72:73], s[30:31], v[158:159]
	v_add_f64 v[160:161], v[168:169], v[160:161]
	v_fma_f64 v[96:97], v[124:125], s[24:25], v[96:97]
	v_fma_f64 v[104:105], v[152:153], s[6:7], -v[104:105]
	v_add_f64 v[102:103], v[44:45], v[102:103]
	v_mul_f64 v[168:169], v[142:143], s[16:17]
	v_fma_f64 v[172:173], v[144:145], s[18:19], v[162:163]
	v_add_f64 v[90:91], v[90:91], v[98:99]
	v_fma_f64 v[98:99], v[54:55], s[34:35], v[170:171]
	v_add_f64 v[160:161], v[166:167], v[160:161]
	v_fma_f64 v[174:175], v[120:121], s[26:27], v[92:93]
	v_fma_f64 v[94:95], v[156:157], s[0:1], -v[94:95]
	v_add_f64 v[104:105], v[40:41], v[104:105]
	v_add_f64 v[96:97], v[96:97], v[102:103]
	v_mul_f64 v[102:103], v[126:127], s[0:1]
	v_fma_f64 v[166:167], v[62:63], s[4:5], v[168:169]
	v_add_f64 v[90:91], v[172:173], v[90:91]
	v_add_f64 v[86:87], v[100:101], v[86:87]
	;; [unrolled: 1-line block ×3, first 2 shown]
	v_fma_f64 v[98:99], v[72:73], s[28:29], v[158:159]
	v_fma_f64 v[100:101], v[148:149], s[10:11], -v[164:165]
	v_add_f64 v[94:95], v[94:95], v[104:105]
	v_add_f64 v[96:97], v[174:175], v[96:97]
	v_mul_f64 v[158:159], v[140:141], s[12:13]
	v_fma_f64 v[160:161], v[144:145], s[18:19], -v[162:163]
	v_mul_f64 v[162:163], v[122:123], s[18:19]
	v_fma_f64 v[164:165], v[128:129], s[24:25], v[102:103]
	v_add_f64 v[90:91], v[166:167], v[90:91]
	v_fma_f64 v[104:105], v[54:55], s[16:17], v[170:171]
	v_add_f64 v[94:95], v[100:101], v[94:95]
	v_add_f64 v[96:97], v[98:99], v[96:97]
	v_fma_f64 v[98:99], v[62:63], s[4:5], -v[168:169]
	v_mul_f64 v[100:101], v[150:151], s[30:31]
	v_fma_f64 v[166:167], v[152:153], s[0:1], v[158:159]
	v_mul_f64 v[168:169], v[118:119], s[4:5]
	v_fma_f64 v[170:171], v[124:125], s[28:29], v[162:163]
	v_add_f64 v[164:165], v[44:45], v[164:165]
	v_add_f64 v[94:95], v[160:161], v[94:95]
	;; [unrolled: 1-line block ×3, first 2 shown]
	v_mul_f64 v[104:105], v[154:155], s[16:17]
	v_fma_f64 v[160:161], v[156:157], s[18:19], v[100:101]
	v_add_f64 v[166:167], v[40:41], v[166:167]
	v_mul_f64 v[172:173], v[116:117], s[10:11]
	v_fma_f64 v[174:175], v[120:121], s[34:35], v[168:169]
	v_add_f64 v[164:165], v[170:171], v[164:165]
	v_add_f64 v[94:95], v[98:99], v[94:95]
	v_mul_f64 v[170:171], v[114:115], s[6:7]
	v_mul_f64 v[176:177], v[146:147], s[26:27]
	v_fma_f64 v[98:99], v[148:149], s[4:5], v[104:105]
	v_add_f64 v[160:161], v[160:161], v[166:167]
	v_fma_f64 v[166:167], v[72:73], s[22:23], v[172:173]
	v_fma_f64 v[102:103], v[128:129], s[12:13], v[102:103]
	v_add_f64 v[164:165], v[174:175], v[164:165]
	v_fma_f64 v[158:159], v[152:153], s[0:1], -v[158:159]
	v_mul_f64 v[174:175], v[142:143], s[20:21]
	v_fma_f64 v[178:179], v[54:55], s[36:37], v[170:171]
	v_fma_f64 v[180:181], v[144:145], s[10:11], v[176:177]
	v_add_f64 v[98:99], v[98:99], v[160:161]
	v_fma_f64 v[160:161], v[124:125], s[30:31], v[162:163]
	v_add_f64 v[102:103], v[44:45], v[102:103]
	v_add_f64 v[162:163], v[166:167], v[164:165]
	v_mul_f64 v[166:167], v[126:127], s[4:5]
	v_fma_f64 v[182:183], v[156:157], s[18:19], -v[100:101]
	v_add_f64 v[158:159], v[40:41], v[158:159]
	v_fma_f64 v[164:165], v[62:63], s[6:7], v[174:175]
	v_add_f64 v[98:99], v[180:181], v[98:99]
	v_fma_f64 v[168:169], v[120:121], s[16:17], v[168:169]
	v_add_f64 v[102:103], v[160:161], v[102:103]
	v_add_f64 v[100:101], v[178:179], v[162:163]
	v_mul_f64 v[160:161], v[122:123], s[6:7]
	v_fma_f64 v[162:163], v[128:129], s[16:17], v[166:167]
	v_fma_f64 v[104:105], v[148:149], s[4:5], -v[104:105]
	v_add_f64 v[158:159], v[182:183], v[158:159]
	v_add_f64 v[98:99], v[164:165], v[98:99]
	v_fma_f64 v[164:165], v[72:73], s[26:27], v[172:173]
	v_add_f64 v[102:103], v[168:169], v[102:103]
	v_mul_f64 v[168:169], v[118:119], s[18:19]
	v_fma_f64 v[172:173], v[124:125], s[36:37], v[160:161]
	v_add_f64 v[162:163], v[44:45], v[162:163]
	v_fma_f64 v[176:177], v[144:145], s[10:11], -v[176:177]
	v_add_f64 v[104:105], v[104:105], v[158:159]
	v_fma_f64 v[158:159], v[54:55], s[20:21], v[170:171]
	v_mul_f64 v[170:171], v[140:141], s[34:35]
	v_add_f64 v[102:103], v[164:165], v[102:103]
	v_mul_f64 v[164:165], v[116:117], s[0:1]
	v_fma_f64 v[178:179], v[120:121], s[28:29], v[168:169]
	v_add_f64 v[162:163], v[172:173], v[162:163]
	v_fma_f64 v[172:173], v[62:63], s[6:7], -v[174:175]
	v_add_f64 v[174:175], v[176:177], v[104:105]
	v_mul_f64 v[176:177], v[150:151], s[20:21]
	v_fma_f64 v[180:181], v[152:153], s[4:5], v[170:171]
	v_add_f64 v[104:105], v[158:159], v[102:103]
	v_fma_f64 v[182:183], v[72:73], s[12:13], v[164:165]
	v_mul_f64 v[186:187], v[146:147], s[24:25]
	v_add_f64 v[162:163], v[178:179], v[162:163]
	v_mul_f64 v[178:179], v[154:155], s[30:31]
	v_add_f64 v[102:103], v[172:173], v[174:175]
	v_fma_f64 v[172:173], v[156:157], s[6:7], v[176:177]
	v_add_f64 v[174:175], v[40:41], v[180:181]
	v_fma_f64 v[166:167], v[128:129], s[34:35], v[166:167]
	v_fma_f64 v[170:171], v[152:153], s[4:5], -v[170:171]
	v_fma_f64 v[188:189], v[144:145], s[0:1], v[186:187]
	v_add_f64 v[162:163], v[182:183], v[162:163]
	v_fma_f64 v[182:183], v[148:149], s[18:19], v[178:179]
	v_fma_f64 v[160:161], v[124:125], s[20:21], v[160:161]
	v_fma_f64 v[176:177], v[156:157], s[6:7], -v[176:177]
	v_add_f64 v[172:173], v[172:173], v[174:175]
	v_add_f64 v[166:167], v[44:45], v[166:167]
	;; [unrolled: 1-line block ×3, first 2 shown]
	v_fma_f64 v[168:169], v[120:121], s[30:31], v[168:169]
	v_add_f64 v[110:111], v[44:45], v[110:111]
	v_fma_f64 v[164:165], v[72:73], s[24:25], v[164:165]
	v_add_f64 v[112:113], v[40:41], v[112:113]
	v_mul_f64 v[126:127], v[126:127], s[10:11]
	v_add_f64 v[172:173], v[182:183], v[172:173]
	v_add_f64 v[160:161], v[160:161], v[166:167]
	;; [unrolled: 1-line block ×3, first 2 shown]
	v_mul_f64 v[140:141], v[140:141], s[26:27]
	v_add_f64 v[106:107], v[106:107], v[110:111]
	v_mul_f64 v[122:123], v[122:123], s[4:5]
	v_mul_f64 v[118:119], v[118:119], s[0:1]
	v_fma_f64 v[190:191], v[128:129], s[22:23], v[126:127]
	v_add_f64 v[166:167], v[188:189], v[172:173]
	v_fma_f64 v[172:173], v[148:149], s[18:19], -v[178:179]
	v_add_f64 v[160:161], v[168:169], v[160:161]
	v_fma_f64 v[168:169], v[144:145], s[0:1], -v[186:187]
	v_add_f64 v[78:79], v[78:79], v[106:107]
	v_fma_f64 v[126:127], v[128:129], s[26:27], v[126:127]
	v_fma_f64 v[182:183], v[124:125], s[16:17], v[122:123]
	v_add_f64 v[190:191], v[44:45], v[190:191]
	v_fma_f64 v[122:123], v[124:125], s[34:35], v[122:123]
	v_add_f64 v[170:171], v[172:173], v[170:171]
	v_add_f64 v[110:111], v[164:165], v[160:161]
	v_mul_f64 v[128:129], v[154:155], s[12:13]
	v_add_f64 v[78:79], v[132:133], v[78:79]
	v_mul_f64 v[132:133], v[150:151], s[34:35]
	v_fma_f64 v[150:151], v[152:153], s[10:11], v[140:141]
	v_add_f64 v[44:45], v[44:45], v[126:127]
	v_mul_f64 v[176:177], v[116:117], s[6:7]
	v_add_f64 v[164:165], v[168:169], v[170:171]
	v_add_f64 v[168:169], v[108:109], v[112:113]
	v_fma_f64 v[116:117], v[120:121], s[24:25], v[118:119]
	v_add_f64 v[70:71], v[70:71], v[78:79]
	v_fma_f64 v[124:125], v[156:157], s[4:5], -v[132:133]
	v_fma_f64 v[118:119], v[120:121], s[12:13], v[118:119]
	v_add_f64 v[44:45], v[122:123], v[44:45]
	v_mul_f64 v[146:147], v[146:147], s[20:21]
	v_fma_f64 v[78:79], v[156:157], s[4:5], v[132:133]
	v_add_f64 v[138:139], v[138:139], v[168:169]
	v_mul_f64 v[158:159], v[114:115], s[10:11]
	v_add_f64 v[66:67], v[66:67], v[70:71]
	v_mul_f64 v[114:115], v[114:115], s[18:19]
	v_fma_f64 v[172:173], v[72:73], s[36:37], v[176:177]
	v_fma_f64 v[72:73], v[72:73], s[20:21], v[176:177]
	v_add_f64 v[44:45], v[118:119], v[44:45]
	v_mul_f64 v[180:181], v[142:143], s[22:23]
	v_add_f64 v[136:137], v[136:137], v[138:139]
	v_fma_f64 v[138:139], v[152:153], s[10:11], -v[140:141]
	v_add_f64 v[140:141], v[40:41], v[150:151]
	v_add_f64 v[60:61], v[60:61], v[66:67]
	;; [unrolled: 1-line block ×3, first 2 shown]
	v_mul_f64 v[142:143], v[142:143], s[28:29]
	v_fma_f64 v[70:71], v[148:149], s[0:1], v[128:129]
	v_fma_f64 v[184:185], v[54:55], s[26:27], v[158:159]
	v_add_f64 v[68:69], v[68:69], v[136:137]
	v_add_f64 v[40:41], v[40:41], v[138:139]
	;; [unrolled: 1-line block ×4, first 2 shown]
	v_fma_f64 v[158:159], v[54:55], s[22:23], v[158:159]
	v_fma_f64 v[170:171], v[54:55], s[30:31], v[114:115]
	;; [unrolled: 1-line block ×3, first 2 shown]
	v_add_f64 v[44:45], v[72:73], v[44:45]
	v_add_f64 v[64:65], v[64:65], v[68:69]
	v_fma_f64 v[68:69], v[148:149], s[0:1], -v[128:129]
	v_add_f64 v[40:41], v[124:125], v[40:41]
	v_add_f64 v[116:117], v[116:117], v[178:179]
	v_fma_f64 v[66:67], v[144:145], s[6:7], v[146:147]
	v_add_f64 v[70:71], v[70:71], v[78:79]
	v_add_f64 v[56:57], v[50:51], v[56:57]
	v_lshrrev_b32_e32 v50, 2, v134
	v_add_f64 v[58:59], v[58:59], v[64:65]
	v_fma_f64 v[64:65], v[144:145], s[6:7], -v[146:147]
	v_add_f64 v[40:41], v[68:69], v[40:41]
	v_fma_f64 v[174:175], v[62:63], s[10:11], v[180:181]
	v_fma_f64 v[160:161], v[62:63], s[10:11], -v[180:181]
	v_fma_f64 v[60:61], v[62:63], s[18:19], v[142:143]
	v_add_f64 v[116:117], v[172:173], v[116:117]
	v_add_f64 v[66:67], v[66:67], v[70:71]
	;; [unrolled: 1-line block ×3, first 2 shown]
	v_fma_f64 v[58:59], v[62:63], s[18:19], -v[142:143]
	v_add_f64 v[40:41], v[64:65], v[40:41]
	v_mul_hi_u32 v62, v50, s33
	v_add_f64 v[50:51], v[54:55], v[44:45]
	s_movk_i32 s33, 0x54
	v_add_f64 v[54:55], v[46:47], v[56:57]
	v_lshrrev_b32_e32 v44, 2, v62
	v_add_f64 v[52:53], v[48:49], v[52:53]
	v_mul_lo_u32 v44, v44, s33
	v_add_f64 v[48:49], v[58:59], v[40:41]
	v_lshlrev_b64 v[40:41], 4, v[84:85]
	v_add_f64 v[112:113], v[158:159], v[110:111]
	v_add_f64 v[110:111], v[160:161], v[164:165]
	;; [unrolled: 1-line block ×5, first 2 shown]
	v_sub_u32_e32 v42, v134, v44
	v_mov_b32_e32 v43, s15
	v_add_co_u32_e32 v44, vcc, s14, v40
	v_addc_co_u32_e32 v43, vcc, v43, v41, vcc
	v_lshlrev_b64 v[40:41], 4, v[130:131]
	v_add_f64 v[116:117], v[170:171], v[116:117]
	v_add_co_u32_e32 v44, vcc, v44, v40
	v_addc_co_u32_e32 v45, vcc, v43, v41, vcc
	v_lshlrev_b32_e32 v40, 4, v42
	v_add_co_u32_e32 v40, vcc, v44, v40
	v_add_f64 v[114:115], v[60:61], v[66:67]
	v_addc_co_u32_e32 v41, vcc, 0, v45, vcc
	s_movk_i32 s14, 0x1000
	v_add_co_u32_e32 v42, vcc, s14, v40
	v_addc_co_u32_e32 v43, vcc, 0, v41, vcc
	s_movk_i32 s14, 0x2000
	global_store_dwordx4 v[40:41], v[52:55], off
	global_store_dwordx4 v[40:41], v[48:51], off offset:1344
	global_store_dwordx4 v[40:41], v[110:113], off offset:2688
	;; [unrolled: 1-line block ×6, first 2 shown]
	v_add_co_u32_e32 v42, vcc, s14, v40
	v_addc_co_u32_e32 v43, vcc, 0, v41, vcc
	v_add_co_u32_e32 v40, vcc, 0x3000, v40
	global_store_dwordx4 v[42:43], v[90:93], off offset:1216
	global_store_dwordx4 v[42:43], v[98:101], off offset:2560
	;; [unrolled: 1-line block ×3, first 2 shown]
	v_addc_co_u32_e32 v41, vcc, 0, v41, vcc
	v_add_u32_e32 v42, 44, v134
	v_cmp_gt_u32_e32 vcc, s33, v42
	global_store_dwordx4 v[40:41], v[114:117], off offset:1152
	s_and_b64 exec, exec, vcc
	s_cbranch_execz .LBB0_34
; %bb.33:
	v_subrev_u32_e32 v40, 40, v134
	v_cndmask_b32_e64 v40, v40, v135, s[2:3]
	v_mul_i32_i24_e32 v40, 10, v40
	v_mov_b32_e32 v41, 0
	v_lshlrev_b64 v[46:47], 4, v[40:41]
	v_mov_b32_e32 v40, s9
	v_add_co_u32_e32 v78, vcc, s8, v46
	v_addc_co_u32_e32 v79, vcc, v40, v47, vcc
	global_load_dwordx4 v[46:49], v[78:79], off offset:1312
	global_load_dwordx4 v[50:53], v[78:79], off offset:1328
	;; [unrolled: 1-line block ×10, first 2 shown]
	v_mov_b32_e32 v43, v41
	v_lshlrev_b64 v[42:43], 4, v[42:43]
	v_add_u32_e32 v40, 0x80, v134
	v_add_co_u32_e32 v42, vcc, v44, v42
	v_addc_co_u32_e32 v43, vcc, v45, v43, vcc
	s_waitcnt vmcnt(9)
	v_mul_f64 v[78:79], v[22:23], v[48:49]
	v_mul_f64 v[48:49], v[2:3], v[48:49]
	s_waitcnt vmcnt(8)
	v_mul_f64 v[92:93], v[24:25], v[52:53]
	v_mul_f64 v[52:53], v[4:5], v[52:53]
	s_waitcnt vmcnt(7)
	v_mul_f64 v[94:95], v[26:27], v[56:57]
	s_waitcnt vmcnt(6)
	v_mul_f64 v[96:97], v[28:29], v[60:61]
	v_mul_f64 v[60:61], v[8:9], v[60:61]
	s_waitcnt vmcnt(5)
	v_mul_f64 v[98:99], v[30:31], v[64:65]
	s_waitcnt vmcnt(1)
	v_mul_f64 v[106:107], v[38:39], v[86:87]
	v_fma_f64 v[2:3], v[2:3], v[46:47], -v[78:79]
	v_mul_f64 v[64:65], v[10:11], v[64:65]
	v_mul_f64 v[86:87], v[18:19], v[86:87]
	v_fma_f64 v[4:5], v[4:5], v[50:51], -v[92:93]
	v_fma_f64 v[24:25], v[24:25], v[50:51], v[52:53]
	v_mul_f64 v[56:57], v[6:7], v[56:57]
	v_fma_f64 v[22:23], v[22:23], v[46:47], v[48:49]
	v_fma_f64 v[18:19], v[18:19], v[84:85], -v[106:107]
	v_add_f64 v[50:51], v[0:1], v[2:3]
	v_fma_f64 v[6:7], v[6:7], v[54:55], -v[94:95]
	v_fma_f64 v[8:9], v[8:9], v[58:59], -v[96:97]
	v_fma_f64 v[28:29], v[28:29], v[58:59], v[60:61]
	v_fma_f64 v[10:11], v[10:11], v[62:63], -v[98:99]
	v_fma_f64 v[30:31], v[30:31], v[62:63], v[64:65]
	s_waitcnt vmcnt(0)
	v_mul_f64 v[108:109], v[82:83], v[90:91]
	v_add_f64 v[58:59], v[4:5], v[18:19]
	v_add_f64 v[62:63], v[4:5], -v[18:19]
	v_add_f64 v[4:5], v[50:51], v[4:5]
	v_mul_f64 v[90:91], v[80:81], v[90:91]
	v_fma_f64 v[38:39], v[38:39], v[84:85], v[86:87]
	v_add_f64 v[52:53], v[20:21], v[22:23]
	v_mul_f64 v[100:101], v[32:33], v[68:69]
	v_fma_f64 v[26:27], v[26:27], v[54:55], v[56:57]
	v_mul_f64 v[68:69], v[12:13], v[68:69]
	v_mul_f64 v[102:103], v[34:35], v[72:73]
	v_add_f64 v[4:5], v[4:5], v[6:7]
	v_fma_f64 v[48:49], v[82:83], v[88:89], v[90:91]
	v_add_f64 v[60:61], v[24:25], v[38:39]
	v_add_f64 v[64:65], v[24:25], -v[38:39]
	v_add_f64 v[24:25], v[52:53], v[24:25]
	v_mul_f64 v[72:73], v[14:15], v[72:73]
	v_mul_f64 v[104:105], v[36:37], v[76:77]
	;; [unrolled: 1-line block ×3, first 2 shown]
	v_add_f64 v[4:5], v[4:5], v[8:9]
	v_fma_f64 v[12:13], v[12:13], v[66:67], -v[100:101]
	v_fma_f64 v[46:47], v[80:81], v[88:89], -v[108:109]
	v_add_f64 v[56:57], v[22:23], v[48:49]
	v_add_f64 v[22:23], v[22:23], -v[48:49]
	v_add_f64 v[24:25], v[24:25], v[26:27]
	v_fma_f64 v[32:33], v[32:33], v[66:67], v[68:69]
	v_fma_f64 v[14:15], v[14:15], v[70:71], -v[102:103]
	v_add_f64 v[4:5], v[4:5], v[10:11]
	v_fma_f64 v[34:35], v[34:35], v[70:71], v[72:73]
	v_fma_f64 v[16:17], v[16:17], v[74:75], -v[104:105]
	v_fma_f64 v[36:37], v[36:37], v[74:75], v[76:77]
	v_add_f64 v[54:55], v[2:3], v[46:47]
	v_add_f64 v[2:3], v[2:3], -v[46:47]
	v_mul_f64 v[50:51], v[22:23], s[26:27]
	v_mul_f64 v[66:67], v[22:23], s[34:35]
	;; [unrolled: 1-line block ×5, first 2 shown]
	v_add_f64 v[24:25], v[24:25], v[28:29]
	v_add_f64 v[4:5], v[4:5], v[12:13]
	v_mul_f64 v[52:53], v[2:3], s[26:27]
	v_fma_f64 v[94:95], v[54:55], s[10:11], -v[50:51]
	v_fma_f64 v[50:51], v[54:55], s[10:11], v[50:51]
	v_fma_f64 v[98:99], v[54:55], s[4:5], -v[66:67]
	v_fma_f64 v[66:67], v[54:55], s[4:5], v[66:67]
	;; [unrolled: 2-line block ×5, first 2 shown]
	v_add_f64 v[24:25], v[24:25], v[30:31]
	v_add_f64 v[4:5], v[4:5], v[14:15]
	v_mul_f64 v[68:69], v[2:3], s[34:35]
	v_mul_f64 v[72:73], v[2:3], s[12:13]
	;; [unrolled: 1-line block ×6, first 2 shown]
	v_fma_f64 v[96:97], v[56:57], s[10:11], v[52:53]
	v_fma_f64 v[52:53], v[56:57], s[10:11], -v[52:53]
	v_add_f64 v[94:95], v[0:1], v[94:95]
	v_add_f64 v[50:51], v[0:1], v[50:51]
	v_add_f64 v[98:99], v[0:1], v[98:99]
	v_add_f64 v[66:67], v[0:1], v[66:67]
	v_add_f64 v[24:25], v[24:25], v[32:33]
	v_add_f64 v[102:103], v[0:1], v[102:103]
	v_add_f64 v[70:71], v[0:1], v[70:71]
	v_add_f64 v[106:107], v[0:1], v[106:107]
	v_add_f64 v[74:75], v[0:1], v[74:75]
	v_add_f64 v[110:111], v[0:1], v[110:111]
	v_add_f64 v[22:23], v[0:1], v[22:23]
	v_add_f64 v[0:1], v[4:5], v[16:17]
	v_mul_f64 v[82:83], v[64:65], s[20:21]
	v_mul_f64 v[84:85], v[62:63], s[20:21]
	v_fma_f64 v[100:101], v[56:57], s[4:5], v[68:69]
	v_fma_f64 v[68:69], v[56:57], s[4:5], -v[68:69]
	v_fma_f64 v[104:105], v[56:57], s[0:1], v[72:73]
	v_fma_f64 v[72:73], v[56:57], s[0:1], -v[72:73]
	;; [unrolled: 2-line block ×4, first 2 shown]
	v_fma_f64 v[54:55], v[58:59], s[4:5], -v[78:79]
	v_fma_f64 v[56:57], v[60:61], s[4:5], v[80:81]
	v_fma_f64 v[78:79], v[58:59], s[4:5], v[78:79]
	v_fma_f64 v[80:81], v[60:61], s[4:5], -v[80:81]
	v_add_f64 v[52:53], v[20:21], v[52:53]
	v_add_f64 v[24:25], v[24:25], v[34:35]
	;; [unrolled: 1-line block ×3, first 2 shown]
	v_mul_f64 v[86:87], v[64:65], s[30:31]
	v_mul_f64 v[88:89], v[62:63], s[30:31]
	;; [unrolled: 1-line block ×4, first 2 shown]
	v_fma_f64 v[114:115], v[58:59], s[6:7], -v[82:83]
	v_fma_f64 v[116:117], v[60:61], s[6:7], v[84:85]
	v_fma_f64 v[82:83], v[58:59], s[6:7], v[82:83]
	v_fma_f64 v[84:85], v[60:61], s[6:7], -v[84:85]
	v_add_f64 v[96:97], v[20:21], v[96:97]
	v_add_f64 v[100:101], v[20:21], v[100:101]
	;; [unrolled: 1-line block ×13, first 2 shown]
	v_mul_f64 v[46:47], v[62:63], s[22:23]
	v_add_f64 v[78:79], v[26:27], -v[36:37]
	v_add_f64 v[80:81], v[6:7], -v[16:17]
	v_mul_f64 v[92:93], v[62:63], s[24:25]
	v_fma_f64 v[118:119], v[58:59], s[18:19], -v[86:87]
	v_fma_f64 v[120:121], v[60:61], s[18:19], v[88:89]
	v_fma_f64 v[86:87], v[58:59], s[18:19], v[86:87]
	v_fma_f64 v[88:89], v[60:61], s[18:19], -v[88:89]
	v_add_f64 v[2:3], v[2:3], v[38:39]
	v_add_f64 v[18:19], v[82:83], v[66:67]
	;; [unrolled: 1-line block ×3, first 2 shown]
	v_fma_f64 v[82:83], v[58:59], s[10:11], -v[64:65]
	v_fma_f64 v[84:85], v[60:61], s[10:11], v[46:47]
	v_add_f64 v[6:7], v[6:7], v[16:17]
	v_add_f64 v[16:17], v[26:27], v[36:37]
	v_mul_f64 v[26:27], v[78:79], s[12:13]
	v_mul_f64 v[36:37], v[80:81], s[12:13]
	v_fma_f64 v[122:123], v[58:59], s[0:1], -v[90:91]
	v_fma_f64 v[124:125], v[60:61], s[0:1], v[92:93]
	v_fma_f64 v[90:91], v[58:59], s[0:1], v[90:91]
	v_fma_f64 v[92:93], v[60:61], s[0:1], -v[92:93]
	v_add_f64 v[4:5], v[54:55], v[94:95]
	v_add_f64 v[24:25], v[56:57], v[96:97]
	;; [unrolled: 1-line block ×4, first 2 shown]
	v_fma_f64 v[58:59], v[58:59], s[10:11], v[64:65]
	v_fma_f64 v[46:47], v[60:61], s[10:11], -v[46:47]
	v_add_f64 v[60:61], v[82:83], v[110:111]
	v_add_f64 v[64:65], v[84:85], v[112:113]
	v_mul_f64 v[82:83], v[78:79], s[30:31]
	v_mul_f64 v[84:85], v[80:81], s[30:31]
	v_fma_f64 v[86:87], v[6:7], s[0:1], -v[26:27]
	v_fma_f64 v[88:89], v[16:17], s[0:1], v[36:37]
	v_add_f64 v[54:55], v[114:115], v[98:99]
	v_add_f64 v[56:57], v[116:117], v[100:101]
	;; [unrolled: 1-line block ×4, first 2 shown]
	v_fma_f64 v[26:27], v[6:7], s[0:1], v[26:27]
	v_fma_f64 v[36:37], v[16:17], s[0:1], -v[36:37]
	v_fma_f64 v[46:47], v[6:7], s[18:19], -v[82:83]
	v_fma_f64 v[58:59], v[16:17], s[18:19], v[84:85]
	v_add_f64 v[4:5], v[86:87], v[4:5]
	v_add_f64 v[24:25], v[88:89], v[24:25]
	v_mul_f64 v[86:87], v[78:79], s[16:17]
	v_mul_f64 v[88:89], v[80:81], s[16:17]
	v_add_f64 v[66:67], v[118:119], v[102:103]
	v_add_f64 v[68:69], v[120:121], v[104:105]
	;; [unrolled: 1-line block ×6, first 2 shown]
	v_fma_f64 v[52:53], v[6:7], s[18:19], v[82:83]
	v_fma_f64 v[54:55], v[16:17], s[18:19], -v[84:85]
	v_fma_f64 v[56:57], v[6:7], s[4:5], -v[86:87]
	v_fma_f64 v[58:59], v[16:17], s[4:5], v[88:89]
	v_mul_f64 v[82:83], v[78:79], s[26:27]
	v_mul_f64 v[84:85], v[80:81], s[26:27]
	v_add_f64 v[2:3], v[2:3], v[48:49]
	v_add_f64 v[48:49], v[122:123], v[106:107]
	;; [unrolled: 1-line block ×7, first 2 shown]
	v_fma_f64 v[56:57], v[6:7], s[10:11], -v[82:83]
	v_fma_f64 v[58:59], v[16:17], s[10:11], v[84:85]
	v_fma_f64 v[86:87], v[6:7], s[4:5], v[86:87]
	v_fma_f64 v[88:89], v[16:17], s[4:5], -v[88:89]
	v_add_f64 v[74:75], v[90:91], v[74:75]
	v_add_f64 v[76:77], v[92:93], v[76:77]
	global_store_dwordx4 v[42:43], v[0:3], off
	v_add_f64 v[48:49], v[56:57], v[48:49]
	v_add_f64 v[56:57], v[58:59], v[62:63]
	v_add_f64 v[58:59], v[28:29], -v[34:35]
	v_add_f64 v[62:63], v[8:9], -v[14:15]
	v_add_f64 v[66:67], v[86:87], v[70:71]
	v_add_f64 v[68:69], v[88:89], v[72:73]
	v_mul_f64 v[70:71], v[78:79], s[20:21]
	v_mul_f64 v[72:73], v[80:81], s[20:21]
	v_fma_f64 v[78:79], v[6:7], s[10:11], v[82:83]
	v_fma_f64 v[80:81], v[16:17], s[10:11], -v[84:85]
	v_add_f64 v[8:9], v[8:9], v[14:15]
	v_add_f64 v[14:15], v[28:29], v[34:35]
	v_mul_f64 v[28:29], v[58:59], s[20:21]
	v_mul_f64 v[34:35], v[62:63], s[20:21]
	v_fma_f64 v[82:83], v[6:7], s[6:7], -v[70:71]
	v_fma_f64 v[84:85], v[16:17], s[6:7], v[72:73]
	v_add_f64 v[74:75], v[78:79], v[74:75]
	v_add_f64 v[76:77], v[80:81], v[76:77]
	v_fma_f64 v[6:7], v[6:7], s[6:7], v[70:71]
	v_fma_f64 v[16:17], v[16:17], s[6:7], -v[72:73]
	v_fma_f64 v[78:79], v[8:9], s[6:7], -v[28:29]
	v_fma_f64 v[80:81], v[14:15], s[6:7], v[34:35]
	v_fma_f64 v[28:29], v[8:9], s[6:7], v[28:29]
	v_fma_f64 v[34:35], v[14:15], s[6:7], -v[34:35]
	v_mul_f64 v[70:71], v[58:59], s[24:25]
	v_mul_f64 v[72:73], v[62:63], s[24:25]
	v_add_f64 v[6:7], v[6:7], v[22:23]
	v_add_f64 v[16:17], v[16:17], v[20:21]
	;; [unrolled: 1-line block ×6, first 2 shown]
	v_mul_f64 v[36:37], v[62:63], s[26:27]
	v_mul_f64 v[34:35], v[58:59], s[26:27]
	v_fma_f64 v[20:21], v[8:9], s[0:1], -v[70:71]
	v_fma_f64 v[22:23], v[14:15], s[0:1], v[72:73]
	v_fma_f64 v[70:71], v[8:9], s[0:1], v[70:71]
	v_fma_f64 v[72:73], v[14:15], s[0:1], -v[72:73]
	v_add_f64 v[60:61], v[82:83], v[60:61]
	v_add_f64 v[64:65], v[84:85], v[64:65]
	v_fma_f64 v[80:81], v[14:15], s[10:11], v[36:37]
	v_fma_f64 v[36:37], v[14:15], s[10:11], -v[36:37]
	v_fma_f64 v[78:79], v[8:9], s[10:11], -v[34:35]
	v_fma_f64 v[34:35], v[8:9], s[10:11], v[34:35]
	v_add_f64 v[20:21], v[20:21], v[46:47]
	v_mul_f64 v[46:47], v[58:59], s[28:29]
	v_mul_f64 v[58:59], v[58:59], s[16:17]
	v_add_f64 v[22:23], v[22:23], v[50:51]
	v_mul_f64 v[50:51], v[62:63], s[28:29]
	v_add_f64 v[36:37], v[36:37], v[68:69]
	v_add_f64 v[68:69], v[10:11], -v[12:13]
	v_add_f64 v[34:35], v[34:35], v[66:67]
	v_add_f64 v[66:67], v[30:31], -v[32:33]
	v_mul_f64 v[62:63], v[62:63], s[16:17]
	v_add_f64 v[18:19], v[70:71], v[18:19]
	v_add_f64 v[70:71], v[10:11], v[12:13]
	;; [unrolled: 1-line block ×3, first 2 shown]
	v_fma_f64 v[32:33], v[8:9], s[4:5], -v[58:59]
	v_mul_f64 v[12:13], v[68:69], s[28:29]
	v_add_f64 v[38:39], v[72:73], v[38:39]
	v_mul_f64 v[10:11], v[66:67], s[28:29]
	v_fma_f64 v[72:73], v[14:15], s[4:5], v[62:63]
	v_fma_f64 v[82:83], v[8:9], s[18:19], -v[46:47]
	v_fma_f64 v[84:85], v[14:15], s[18:19], v[50:51]
	v_fma_f64 v[46:47], v[8:9], s[18:19], v[46:47]
	v_fma_f64 v[50:51], v[14:15], s[18:19], -v[50:51]
	v_fma_f64 v[8:9], v[8:9], s[4:5], v[58:59]
	v_fma_f64 v[14:15], v[14:15], s[4:5], -v[62:63]
	v_fma_f64 v[62:63], v[30:31], s[18:19], v[12:13]
	v_add_f64 v[60:61], v[32:33], v[60:61]
	v_mul_f64 v[32:33], v[66:67], s[22:23]
	v_fma_f64 v[58:59], v[70:71], s[18:19], -v[10:11]
	v_add_f64 v[64:65], v[72:73], v[64:65]
	v_mul_f64 v[72:73], v[68:69], s[22:23]
	v_add_f64 v[46:47], v[46:47], v[74:75]
	v_add_f64 v[74:75], v[8:9], v[6:7]
	;; [unrolled: 1-line block ×3, first 2 shown]
	v_fma_f64 v[8:9], v[70:71], s[18:19], v[10:11]
	v_fma_f64 v[10:11], v[30:31], s[18:19], -v[12:13]
	v_fma_f64 v[12:13], v[70:71], s[10:11], -v[32:33]
	v_mul_f64 v[24:25], v[66:67], s[20:21]
	v_add_f64 v[50:51], v[50:51], v[76:77]
	v_add_f64 v[76:77], v[14:15], v[16:17]
	;; [unrolled: 1-line block ×3, first 2 shown]
	v_mul_f64 v[58:59], v[68:69], s[20:21]
	v_fma_f64 v[16:17], v[70:71], s[10:11], v[32:33]
	v_fma_f64 v[32:33], v[30:31], s[10:11], -v[72:73]
	v_add_f64 v[52:53], v[78:79], v[52:53]
	v_fma_f64 v[14:15], v[30:31], s[10:11], v[72:73]
	v_add_f64 v[12:13], v[12:13], v[20:21]
	v_fma_f64 v[20:21], v[70:71], s[6:7], -v[24:25]
	v_add_f64 v[8:9], v[8:9], v[26:27]
	v_add_f64 v[10:11], v[10:11], v[28:29]
	;; [unrolled: 1-line block ×4, first 2 shown]
	v_fma_f64 v[24:25], v[70:71], s[6:7], v[24:25]
	v_fma_f64 v[26:27], v[30:31], s[6:7], -v[58:59]
	v_mul_f64 v[28:29], v[66:67], s[16:17]
	v_mul_f64 v[32:33], v[68:69], s[16:17]
	v_add_f64 v[54:55], v[80:81], v[54:55]
	v_add_f64 v[14:15], v[14:15], v[22:23]
	v_fma_f64 v[22:23], v[30:31], s[6:7], v[58:59]
	v_add_f64 v[20:21], v[20:21], v[52:53]
	v_mul_f64 v[38:39], v[66:67], s[12:13]
	v_mul_f64 v[52:53], v[68:69], s[12:13]
	v_add_f64 v[48:49], v[82:83], v[48:49]
	v_add_f64 v[56:57], v[84:85], v[56:57]
	;; [unrolled: 1-line block ×4, first 2 shown]
	v_fma_f64 v[34:35], v[70:71], s[4:5], -v[28:29]
	v_fma_f64 v[36:37], v[30:31], s[4:5], v[32:33]
	v_lshlrev_b64 v[0:1], 4, v[40:41]
	v_add_u32_e32 v40, 0xd4, v134
	v_add_co_u32_e32 v0, vcc, v44, v0
	v_addc_co_u32_e32 v1, vcc, v45, v1, vcc
	v_add_f64 v[22:23], v[22:23], v[54:55]
	v_fma_f64 v[62:63], v[70:71], s[0:1], -v[38:39]
	v_fma_f64 v[66:67], v[30:31], s[0:1], v[52:53]
	global_store_dwordx4 v[0:1], v[4:7], off
	v_lshlrev_b64 v[0:1], 4, v[40:41]
	v_add_u32_e32 v40, 0x128, v134
	v_add_co_u32_e32 v0, vcc, v44, v0
	v_addc_co_u32_e32 v1, vcc, v45, v1, vcc
	v_fma_f64 v[54:55], v[70:71], s[4:5], v[28:29]
	v_fma_f64 v[58:59], v[30:31], s[4:5], -v[32:33]
	v_fma_f64 v[68:69], v[70:71], s[0:1], v[38:39]
	v_fma_f64 v[52:53], v[30:31], s[0:1], -v[52:53]
	v_add_f64 v[28:29], v[34:35], v[48:49]
	v_add_f64 v[30:31], v[36:37], v[56:57]
	global_store_dwordx4 v[0:1], v[12:15], off
	v_lshlrev_b64 v[0:1], 4, v[40:41]
	v_add_u32_e32 v40, 0x17c, v134
	v_add_co_u32_e32 v0, vcc, v44, v0
	v_addc_co_u32_e32 v1, vcc, v45, v1, vcc
	v_add_f64 v[36:37], v[62:63], v[60:61]
	v_add_f64 v[38:39], v[66:67], v[64:65]
	global_store_dwordx4 v[0:1], v[20:23], off
	v_lshlrev_b64 v[0:1], 4, v[40:41]
	v_add_u32_e32 v40, 0x1d0, v134
	v_add_co_u32_e32 v0, vcc, v44, v0
	v_addc_co_u32_e32 v1, vcc, v45, v1, vcc
	v_add_f64 v[32:33], v[54:55], v[46:47]
	v_add_f64 v[46:47], v[68:69], v[74:75]
	v_add_f64 v[48:49], v[52:53], v[76:77]
	global_store_dwordx4 v[0:1], v[28:31], off
	v_lshlrev_b64 v[0:1], 4, v[40:41]
	v_add_u32_e32 v40, 0x224, v134
	v_add_co_u32_e32 v0, vcc, v44, v0
	v_addc_co_u32_e32 v1, vcc, v45, v1, vcc
	v_add_f64 v[34:35], v[58:59], v[50:51]
	global_store_dwordx4 v[0:1], v[36:39], off
	v_lshlrev_b64 v[0:1], 4, v[40:41]
	v_add_u32_e32 v40, 0x278, v134
	v_add_co_u32_e32 v0, vcc, v44, v0
	v_addc_co_u32_e32 v1, vcc, v45, v1, vcc
	global_store_dwordx4 v[0:1], v[46:49], off
	v_lshlrev_b64 v[0:1], 4, v[40:41]
	v_add_u32_e32 v40, 0x2cc, v134
	v_add_co_u32_e32 v0, vcc, v44, v0
	v_addc_co_u32_e32 v1, vcc, v45, v1, vcc
	;; [unrolled: 5-line block ×4, first 2 shown]
	global_store_dwordx4 v[0:1], v[16:19], off
	v_lshlrev_b64 v[0:1], 4, v[40:41]
	v_add_co_u32_e32 v0, vcc, v44, v0
	v_addc_co_u32_e32 v1, vcc, v45, v1, vcc
	global_store_dwordx4 v[0:1], v[8:11], off
.LBB0_34:
	s_endpgm
	.section	.rodata,"a",@progbits
	.p2align	6, 0x0
	.amdhsa_kernel fft_rtc_fwd_len924_factors_2_2_3_7_11_wgs_44_tpt_44_halfLds_dp_op_CI_CI_unitstride_sbrr_dirReg
		.amdhsa_group_segment_fixed_size 0
		.amdhsa_private_segment_fixed_size 0
		.amdhsa_kernarg_size 104
		.amdhsa_user_sgpr_count 6
		.amdhsa_user_sgpr_private_segment_buffer 1
		.amdhsa_user_sgpr_dispatch_ptr 0
		.amdhsa_user_sgpr_queue_ptr 0
		.amdhsa_user_sgpr_kernarg_segment_ptr 1
		.amdhsa_user_sgpr_dispatch_id 0
		.amdhsa_user_sgpr_flat_scratch_init 0
		.amdhsa_user_sgpr_private_segment_size 0
		.amdhsa_uses_dynamic_stack 0
		.amdhsa_system_sgpr_private_segment_wavefront_offset 0
		.amdhsa_system_sgpr_workgroup_id_x 1
		.amdhsa_system_sgpr_workgroup_id_y 0
		.amdhsa_system_sgpr_workgroup_id_z 0
		.amdhsa_system_sgpr_workgroup_info 0
		.amdhsa_system_vgpr_workitem_id 0
		.amdhsa_next_free_vgpr 207
		.amdhsa_next_free_sgpr 38
		.amdhsa_reserve_vcc 1
		.amdhsa_reserve_flat_scratch 0
		.amdhsa_float_round_mode_32 0
		.amdhsa_float_round_mode_16_64 0
		.amdhsa_float_denorm_mode_32 3
		.amdhsa_float_denorm_mode_16_64 3
		.amdhsa_dx10_clamp 1
		.amdhsa_ieee_mode 1
		.amdhsa_fp16_overflow 0
		.amdhsa_exception_fp_ieee_invalid_op 0
		.amdhsa_exception_fp_denorm_src 0
		.amdhsa_exception_fp_ieee_div_zero 0
		.amdhsa_exception_fp_ieee_overflow 0
		.amdhsa_exception_fp_ieee_underflow 0
		.amdhsa_exception_fp_ieee_inexact 0
		.amdhsa_exception_int_div_zero 0
	.end_amdhsa_kernel
	.text
.Lfunc_end0:
	.size	fft_rtc_fwd_len924_factors_2_2_3_7_11_wgs_44_tpt_44_halfLds_dp_op_CI_CI_unitstride_sbrr_dirReg, .Lfunc_end0-fft_rtc_fwd_len924_factors_2_2_3_7_11_wgs_44_tpt_44_halfLds_dp_op_CI_CI_unitstride_sbrr_dirReg
                                        ; -- End function
	.section	.AMDGPU.csdata,"",@progbits
; Kernel info:
; codeLenInByte = 15812
; NumSgprs: 42
; NumVgprs: 207
; ScratchSize: 0
; MemoryBound: 1
; FloatMode: 240
; IeeeMode: 1
; LDSByteSize: 0 bytes/workgroup (compile time only)
; SGPRBlocks: 5
; VGPRBlocks: 51
; NumSGPRsForWavesPerEU: 42
; NumVGPRsForWavesPerEU: 207
; Occupancy: 1
; WaveLimiterHint : 1
; COMPUTE_PGM_RSRC2:SCRATCH_EN: 0
; COMPUTE_PGM_RSRC2:USER_SGPR: 6
; COMPUTE_PGM_RSRC2:TRAP_HANDLER: 0
; COMPUTE_PGM_RSRC2:TGID_X_EN: 1
; COMPUTE_PGM_RSRC2:TGID_Y_EN: 0
; COMPUTE_PGM_RSRC2:TGID_Z_EN: 0
; COMPUTE_PGM_RSRC2:TIDIG_COMP_CNT: 0
	.type	__hip_cuid_250394c91c7c91a5,@object ; @__hip_cuid_250394c91c7c91a5
	.section	.bss,"aw",@nobits
	.globl	__hip_cuid_250394c91c7c91a5
__hip_cuid_250394c91c7c91a5:
	.byte	0                               ; 0x0
	.size	__hip_cuid_250394c91c7c91a5, 1

	.ident	"AMD clang version 19.0.0git (https://github.com/RadeonOpenCompute/llvm-project roc-6.4.0 25133 c7fe45cf4b819c5991fe208aaa96edf142730f1d)"
	.section	".note.GNU-stack","",@progbits
	.addrsig
	.addrsig_sym __hip_cuid_250394c91c7c91a5
	.amdgpu_metadata
---
amdhsa.kernels:
  - .args:
      - .actual_access:  read_only
        .address_space:  global
        .offset:         0
        .size:           8
        .value_kind:     global_buffer
      - .offset:         8
        .size:           8
        .value_kind:     by_value
      - .actual_access:  read_only
        .address_space:  global
        .offset:         16
        .size:           8
        .value_kind:     global_buffer
      - .actual_access:  read_only
        .address_space:  global
        .offset:         24
        .size:           8
        .value_kind:     global_buffer
      - .actual_access:  read_only
        .address_space:  global
        .offset:         32
        .size:           8
        .value_kind:     global_buffer
      - .offset:         40
        .size:           8
        .value_kind:     by_value
      - .actual_access:  read_only
        .address_space:  global
        .offset:         48
        .size:           8
        .value_kind:     global_buffer
      - .actual_access:  read_only
        .address_space:  global
        .offset:         56
        .size:           8
        .value_kind:     global_buffer
      - .offset:         64
        .size:           4
        .value_kind:     by_value
      - .actual_access:  read_only
        .address_space:  global
        .offset:         72
        .size:           8
        .value_kind:     global_buffer
      - .actual_access:  read_only
        .address_space:  global
        .offset:         80
        .size:           8
        .value_kind:     global_buffer
      - .actual_access:  read_only
        .address_space:  global
        .offset:         88
        .size:           8
        .value_kind:     global_buffer
      - .actual_access:  write_only
        .address_space:  global
        .offset:         96
        .size:           8
        .value_kind:     global_buffer
    .group_segment_fixed_size: 0
    .kernarg_segment_align: 8
    .kernarg_segment_size: 104
    .language:       OpenCL C
    .language_version:
      - 2
      - 0
    .max_flat_workgroup_size: 44
    .name:           fft_rtc_fwd_len924_factors_2_2_3_7_11_wgs_44_tpt_44_halfLds_dp_op_CI_CI_unitstride_sbrr_dirReg
    .private_segment_fixed_size: 0
    .sgpr_count:     42
    .sgpr_spill_count: 0
    .symbol:         fft_rtc_fwd_len924_factors_2_2_3_7_11_wgs_44_tpt_44_halfLds_dp_op_CI_CI_unitstride_sbrr_dirReg.kd
    .uniform_work_group_size: 1
    .uses_dynamic_stack: false
    .vgpr_count:     207
    .vgpr_spill_count: 0
    .wavefront_size: 64
amdhsa.target:   amdgcn-amd-amdhsa--gfx906
amdhsa.version:
  - 1
  - 2
...

	.end_amdgpu_metadata
